;; amdgpu-corpus repo=zjin-lcf/HeCBench kind=compiled arch=gfx1250 opt=O3
	.amdgcn_target "amdgcn-amd-amdhsa--gfx1250"
	.amdhsa_code_object_version 6
	.text
	.protected	_Z8fill_sigPdS_S_PKdS1_i ; -- Begin function _Z8fill_sigPdS_S_PKdS1_i
	.globl	_Z8fill_sigPdS_S_PKdS1_i
	.p2align	8
	.type	_Z8fill_sigPdS_S_PKdS1_i,@function
_Z8fill_sigPdS_S_PKdS1_i:               ; @_Z8fill_sigPdS_S_PKdS1_i
; %bb.0:
	s_clause 0x1
	s_load_b32 s2, s[0:1], 0x3c
	s_load_b32 s3, s[0:1], 0x28
	s_bfe_u32 s4, ttmp6, 0x4000c
	s_and_b32 s5, ttmp6, 15
	s_add_co_i32 s4, s4, 1
	s_getreg_b32 s6, hwreg(HW_REG_IB_STS2, 6, 4)
	s_mul_i32 s4, ttmp9, s4
	s_delay_alu instid0(SALU_CYCLE_1) | instskip(SKIP_4) | instid1(SALU_CYCLE_1)
	s_add_co_i32 s5, s5, s4
	s_wait_kmcnt 0x0
	s_and_b32 s2, s2, 0xffff
	s_cmp_eq_u32 s6, 0
	s_cselect_b32 s4, ttmp9, s5
	v_mad_u32 v0, s4, s2, v0
	s_mov_b32 s2, exec_lo
	s_delay_alu instid0(VALU_DEP_1)
	v_cmpx_gt_i32_e64 s3, v0
	s_cbranch_execz .LBB0_2
; %bb.1:
	s_clause 0x1
	s_load_b256 s[4:11], s[0:1], 0x0
	s_load_b64 s[2:3], s[0:1], 0x20
	s_wait_kmcnt 0x0
	s_clause 0x1
	global_load_b64 v[2:3], v0, s[10:11] scale_offset
	global_load_b64 v[4:5], v0, s[2:3] scale_offset
	s_wait_loadcnt 0x0
	v_add_f64_e64 v[2:3], -v[2:3], -v[4:5]
	s_clause 0x2
	global_store_b64 v0, v[2:3], s[8:9] scale_offset
	global_store_b64 v0, v[2:3], s[6:7] scale_offset
	;; [unrolled: 1-line block ×3, first 2 shown]
.LBB0_2:
	s_endpgm
	.section	.rodata,"a",@progbits
	.p2align	6, 0x0
	.amdhsa_kernel _Z8fill_sigPdS_S_PKdS1_i
		.amdhsa_group_segment_fixed_size 0
		.amdhsa_private_segment_fixed_size 0
		.amdhsa_kernarg_size 304
		.amdhsa_user_sgpr_count 2
		.amdhsa_user_sgpr_dispatch_ptr 0
		.amdhsa_user_sgpr_queue_ptr 0
		.amdhsa_user_sgpr_kernarg_segment_ptr 1
		.amdhsa_user_sgpr_dispatch_id 0
		.amdhsa_user_sgpr_kernarg_preload_length 0
		.amdhsa_user_sgpr_kernarg_preload_offset 0
		.amdhsa_user_sgpr_private_segment_size 0
		.amdhsa_wavefront_size32 1
		.amdhsa_uses_dynamic_stack 0
		.amdhsa_enable_private_segment 0
		.amdhsa_system_sgpr_workgroup_id_x 1
		.amdhsa_system_sgpr_workgroup_id_y 0
		.amdhsa_system_sgpr_workgroup_id_z 0
		.amdhsa_system_sgpr_workgroup_info 0
		.amdhsa_system_vgpr_workitem_id 0
		.amdhsa_next_free_vgpr 6
		.amdhsa_next_free_sgpr 12
		.amdhsa_named_barrier_count 0
		.amdhsa_reserve_vcc 0
		.amdhsa_float_round_mode_32 0
		.amdhsa_float_round_mode_16_64 0
		.amdhsa_float_denorm_mode_32 3
		.amdhsa_float_denorm_mode_16_64 3
		.amdhsa_fp16_overflow 0
		.amdhsa_memory_ordered 1
		.amdhsa_forward_progress 1
		.amdhsa_inst_pref_size 2
		.amdhsa_round_robin_scheduling 0
		.amdhsa_exception_fp_ieee_invalid_op 0
		.amdhsa_exception_fp_denorm_src 0
		.amdhsa_exception_fp_ieee_div_zero 0
		.amdhsa_exception_fp_ieee_overflow 0
		.amdhsa_exception_fp_ieee_underflow 0
		.amdhsa_exception_fp_ieee_inexact 0
		.amdhsa_exception_int_div_zero 0
	.end_amdhsa_kernel
	.text
.Lfunc_end0:
	.size	_Z8fill_sigPdS_S_PKdS1_i, .Lfunc_end0-_Z8fill_sigPdS_S_PKdS1_i
                                        ; -- End function
	.set _Z8fill_sigPdS_S_PKdS1_i.num_vgpr, 6
	.set _Z8fill_sigPdS_S_PKdS1_i.num_agpr, 0
	.set _Z8fill_sigPdS_S_PKdS1_i.numbered_sgpr, 12
	.set _Z8fill_sigPdS_S_PKdS1_i.num_named_barrier, 0
	.set _Z8fill_sigPdS_S_PKdS1_i.private_seg_size, 0
	.set _Z8fill_sigPdS_S_PKdS1_i.uses_vcc, 0
	.set _Z8fill_sigPdS_S_PKdS1_i.uses_flat_scratch, 0
	.set _Z8fill_sigPdS_S_PKdS1_i.has_dyn_sized_stack, 0
	.set _Z8fill_sigPdS_S_PKdS1_i.has_recursion, 0
	.set _Z8fill_sigPdS_S_PKdS1_i.has_indirect_call, 0
	.section	.AMDGPU.csdata,"",@progbits
; Kernel info:
; codeLenInByte = 208
; TotalNumSgprs: 12
; NumVgprs: 6
; ScratchSize: 0
; MemoryBound: 0
; FloatMode: 240
; IeeeMode: 1
; LDSByteSize: 0 bytes/workgroup (compile time only)
; SGPRBlocks: 0
; VGPRBlocks: 0
; NumSGPRsForWavesPerEU: 12
; NumVGPRsForWavesPerEU: 6
; NamedBarCnt: 0
; Occupancy: 16
; WaveLimiterHint : 0
; COMPUTE_PGM_RSRC2:SCRATCH_EN: 0
; COMPUTE_PGM_RSRC2:USER_SGPR: 2
; COMPUTE_PGM_RSRC2:TRAP_HANDLER: 0
; COMPUTE_PGM_RSRC2:TGID_X_EN: 1
; COMPUTE_PGM_RSRC2:TGID_Y_EN: 0
; COMPUTE_PGM_RSRC2:TGID_Z_EN: 0
; COMPUTE_PGM_RSRC2:TIDIG_COMP_CNT: 0
	.text
	.protected	_Z15integrateStressPdS_S_PKdS1_S1_PKiS1_S1_S1_S_i ; -- Begin function _Z15integrateStressPdS_S_PKdS1_S1_PKiS1_S1_S1_S_i
	.globl	_Z15integrateStressPdS_S_PKdS1_S1_PKiS1_S1_S1_S_i
	.p2align	8
	.type	_Z15integrateStressPdS_S_PKdS1_S1_PKiS1_S1_S1_S_i,@function
_Z15integrateStressPdS_S_PKdS1_S1_PKiS1_S1_S1_S_i: ; @_Z15integrateStressPdS_S_PKdS1_S1_PKiS1_S1_S1_S_i
; %bb.0:
	s_clause 0x1
	s_load_b32 s2, s[0:1], 0x6c
	s_load_b32 s3, s[0:1], 0x58
	s_bfe_u32 s4, ttmp6, 0x4000c
	s_and_b32 s5, ttmp6, 15
	s_add_co_i32 s4, s4, 1
	s_getreg_b32 s6, hwreg(HW_REG_IB_STS2, 6, 4)
	s_mul_i32 s4, ttmp9, s4
	s_delay_alu instid0(SALU_CYCLE_1) | instskip(SKIP_4) | instid1(SALU_CYCLE_1)
	s_add_co_i32 s5, s5, s4
	s_wait_kmcnt 0x0
	s_and_b32 s2, s2, 0xffff
	s_cmp_eq_u32 s6, 0
	s_cselect_b32 s4, ttmp9, s5
	v_mad_u32 v86, s4, s2, v0
	s_mov_b32 s2, exec_lo
	s_delay_alu instid0(VALU_DEP_1)
	v_cmpx_gt_i32_e64 s3, v86
	s_cbranch_execz .LBB1_2
; %bb.1:
	s_load_b256 s[12:19], s[0:1], 0x20
	v_lshlrev_b32_e32 v48, 3, v86
	s_load_b256 s[4:11], s[0:1], 0x0
	s_delay_alu instid0(VALU_DEP_1) | instskip(SKIP_1) | instid1(VALU_DEP_1)
	v_ashrrev_i32_e32 v49, 31, v48
	s_wait_kmcnt 0x0
	v_lshl_add_u64 v[8:9], v[48:49], 2, s[16:17]
	s_clause 0x1
	global_load_b128 v[4:7], v[8:9], off
	global_load_b128 v[0:3], v[8:9], off offset:16
	s_wait_loadcnt 0x1
	s_clause 0x1
	global_load_b64 v[8:9], v6, s[14:15] scale_offset
	global_load_b64 v[14:15], v7, s[14:15] scale_offset
	s_clause 0x3
	global_load_b64 v[34:35], v5, s[12:13] scale_offset
	global_load_b64 v[10:11], v6, s[12:13] scale_offset
	;; [unrolled: 1-line block ×7, first 2 shown]
	s_wait_loadcnt 0x9
	s_clause 0x1
	global_load_b64 v[30:31], v1, s[12:13] scale_offset
	global_load_b64 v[28:29], v1, s[14:15] scale_offset
	;; [unrolled: 1-line block ×4, first 2 shown]
	s_clause 0x1
	global_load_b64 v[18:19], v0, s[14:15] scale_offset
	global_load_b64 v[22:23], v0, s[10:11] scale_offset
                                        ; kill: killed $vgpr0_vgpr1
                                        ; kill: killed $vgpr5_vgpr6_vgpr7
	s_clause 0x4
	global_load_b64 v[6:7], v4, s[14:15] scale_offset
	global_load_b64 v[36:37], v4, s[12:13] scale_offset
	;; [unrolled: 1-line block ×5, first 2 shown]
	s_clause 0x1
	global_load_b64 v[56:57], v2, s[12:13] scale_offset
	global_load_b64 v[40:41], v2, s[14:15] scale_offset
	;; [unrolled: 1-line block ×3, first 2 shown]
	s_wait_loadcnt 0x15
	s_wait_xcnt 0x8
	v_add_f64_e32 v[0:1], v[8:9], v[14:15]
	s_wait_loadcnt 0x13
	s_wait_xcnt 0x5
	v_add_f64_e32 v[4:5], v[34:35], v[10:11]
	s_wait_loadcnt 0x11
	v_add_f64_e32 v[46:47], v[12:13], v[20:21]
	s_wait_loadcnt 0x10
	;; [unrolled: 2-line block ×10, first 2 shown]
	v_add_f64_e32 v[72:73], v[22:23], v[32:33]
	v_lshlrev_b64_e32 v[48:49], 3, v[48:49]
	s_wait_loadcnt 0x5
	v_add_f64_e32 v[94:95], v[44:45], v[22:23]
	s_wait_loadcnt 0x4
	v_add_f64_e32 v[90:91], v[32:33], v[60:61]
	;; [unrolled: 2-line block ×4, first 2 shown]
	v_add_f64_e64 v[0:1], v[0:1], -v[24:25]
	v_add_f64_e64 v[4:5], v[4:5], -v[26:27]
	;; [unrolled: 1-line block ×6, first 2 shown]
	global_load_b64 v[54:55], v3, s[14:15] scale_offset
	v_add_f64_e64 v[62:63], v[62:63], -v[18:19]
	v_add_f64_e64 v[64:65], v[64:65], -v[34:35]
	;; [unrolled: 1-line block ×6, first 2 shown]
	s_wait_xcnt 0x0
	s_load_b128 s[12:15], s[0:1], 0x40
	v_add_f64_e64 v[100:101], v[98:99], -v[8:9]
	s_wait_xcnt 0x0
	s_load_b64 s[0:1], s[0:1], 0x50
	v_add_f64_e64 v[0:1], v[0:1], -v[6:7]
	v_add_f64_e64 v[2:3], v[4:5], -v[36:37]
	;; [unrolled: 1-line block ×12, first 2 shown]
	v_mul_f64_e32 v[0:1], 0.5, v[0:1]
	v_mul_f64_e32 v[4:5], 0.5, v[2:3]
	v_add_f64_e64 v[2:3], v[70:71], -v[36:37]
	v_mul_f64_e32 v[52:53], 0.5, v[46:47]
	v_mul_f64_e32 v[70:71], 0.5, v[50:51]
	;; [unrolled: 1-line block ×8, first 2 shown]
	v_add_f64_e32 v[66:67], v[22:23], v[58:59]
	v_mul_f64_e32 v[68:69], 0.5, v[72:73]
	v_mul_f64_e32 v[64:65], v[4:5], v[0:1]
	v_mul_f64_e32 v[76:77], 0.5, v[2:3]
	v_mul_f64_e32 v[88:89], v[52:53], v[70:71]
	v_mul_f64_e32 v[80:81], v[84:85], v[82:83]
	;; [unrolled: 1-line block ×4, first 2 shown]
	v_fma_f64 v[2:3], v[82:83], v[70:71], -v[64:65]
	v_add_f64_e32 v[64:65], v[12:13], v[60:61]
	v_mul_f64_e32 v[70:71], v[68:69], v[76:77]
	v_fma_f64 v[0:1], v[84:85], v[0:1], -v[88:89]
	v_add_f64_e64 v[82:83], v[60:61], -v[44:45]
	v_fma_f64 v[52:53], v[52:53], v[4:5], -v[80:81]
	v_add_f64_e64 v[80:81], v[56:57], -v[36:37]
	v_add_f64_e64 v[84:85], v[32:33], -v[20:21]
	v_fma_f64 v[4:5], v[76:77], v[74:75], -v[78:79]
	v_add_f64_e64 v[78:79], v[40:41], -v[6:7]
	v_add_f64_e64 v[88:89], v[30:31], -v[26:27]
	v_fma_f64 v[46:47], v[68:69], v[46:47], -v[72:73]
	v_add_f64_e64 v[68:69], v[28:29], -v[14:15]
	v_add_f64_e64 v[76:77], v[66:67], -v[44:45]
	v_add_f64_e64 v[96:97], v[64:65], -v[32:33]
	v_fma_f64 v[50:51], v[62:63], v[50:51], -v[70:71]
	v_fma_f64 v[52:53], 0x3fd00000, v[52:53], 0
	v_add_f64_e32 v[66:67], v[84:85], v[82:83]
	v_add_f64_e64 v[74:75], v[82:83], -v[84:85]
	v_add_f64_e64 v[84:85], v[90:91], -v[12:13]
	v_add_f64_e32 v[64:65], v[88:89], v[80:81]
	v_add_f64_e64 v[72:73], v[80:81], -v[88:89]
	v_add_f64_e32 v[62:63], v[68:69], v[78:79]
	v_add_f64_e64 v[70:71], v[78:79], -v[68:69]
	v_add_f64_e64 v[68:69], v[92:93], -v[60:61]
	v_add_f64_e32 v[80:81], v[60:61], v[58:59]
	v_add_f64_e64 v[82:83], v[94:95], -v[58:59]
	v_add_f64_e64 v[60:61], v[90:91], -v[58:59]
	;; [unrolled: 1-line block ×3, first 2 shown]
	s_wait_loadcnt 0x1
	v_add_f64_e32 v[58:59], v[16:17], v[42:43]
	v_add_f64_e32 v[88:89], v[10:11], v[56:57]
	;; [unrolled: 1-line block ×3, first 2 shown]
	v_add_f64_e64 v[44:45], v[96:97], -v[38:39]
	v_add_f64_e32 v[96:97], v[8:9], v[40:41]
	v_add_f64_e64 v[38:39], v[84:85], -v[38:39]
	v_add_f64_e32 v[84:85], v[26:27], v[42:43]
	v_add_f64_e64 v[106:107], v[80:81], -v[32:33]
	v_add_f64_e64 v[32:33], v[82:83], -v[20:21]
	;; [unrolled: 1-line block ×3, first 2 shown]
	v_add_f64_e32 v[36:37], v[36:37], v[16:17]
	v_add_f64_e64 v[88:89], v[88:89], -v[30:31]
	v_add_f64_e64 v[92:93], v[90:91], -v[10:11]
	;; [unrolled: 1-line block ×4, first 2 shown]
	v_mul_f64_e32 v[38:39], 0.5, v[38:39]
	v_add_f64_e64 v[84:85], v[84:85], -v[56:57]
	v_add_f64_e32 v[56:57], v[56:57], v[42:43]
	v_mul_f64_e32 v[32:33], 0.5, v[32:33]
	v_add_f64_e64 v[36:37], v[36:37], -v[42:43]
	v_add_f64_e64 v[42:43], v[42:43], -v[34:35]
	;; [unrolled: 1-line block ×10, first 2 shown]
	v_add_f64_e32 v[66:67], v[66:67], v[78:79]
	v_add_f64_e64 v[56:57], v[64:65], -v[42:43]
	s_delay_alu instid0(VALU_DEP_4) | instskip(SKIP_4) | instid1(VALU_DEP_3)
	v_mul_f64_e32 v[30:31], 0.5, v[30:31]
	s_wait_loadcnt 0x0
	v_add_f64_e32 v[34:35], v[18:19], v[54:55]
	v_add_f64_e32 v[94:95], v[14:15], v[54:55]
	v_add_f64_e64 v[98:99], v[98:99], -v[54:55]
	v_add_f64_e64 v[34:35], v[34:35], -v[6:7]
	v_add_f64_e32 v[6:7], v[6:7], v[18:19]
	s_delay_alu instid0(VALU_DEP_4) | instskip(SKIP_1) | instid1(VALU_DEP_3)
	v_add_f64_e64 v[94:95], v[94:95], -v[40:41]
	v_add_f64_e32 v[40:41], v[40:41], v[54:55]
	v_add_f64_e64 v[6:7], v[6:7], -v[54:55]
	v_add_f64_e64 v[54:55], v[54:55], -v[24:25]
	;; [unrolled: 1-line block ×8, first 2 shown]
	v_add_f64_e32 v[20:21], v[74:75], v[78:79]
	v_add_f64_e32 v[34:35], v[72:73], v[42:43]
	;; [unrolled: 1-line block ×3, first 2 shown]
	v_add_f64_e64 v[74:75], v[68:69], -v[12:13]
	v_add_f64_e64 v[68:69], v[98:99], -v[18:19]
	;; [unrolled: 1-line block ×3, first 2 shown]
	v_mul_f64_e32 v[72:73], 0.5, v[100:101]
	v_add_f64_e64 v[40:41], v[6:7], -v[14:15]
	v_add_f64_e32 v[14:15], v[70:71], v[54:55]
	v_add_f64_e64 v[70:71], v[62:63], -v[54:55]
	v_add_f64_e32 v[64:65], v[62:63], v[54:55]
	v_add_f64_e64 v[82:83], v[36:37], -v[12:13]
	v_add_f64_e64 v[36:37], v[22:23], -v[12:13]
	v_add_f64_e64 v[12:13], v[60:61], -v[22:23]
	v_add_f64_e64 v[60:61], v[16:17], -v[10:11]
	v_add_f64_e64 v[54:55], v[90:91], -v[16:17]
	v_add_f64_e64 v[62:63], v[102:103], -v[16:17]
	v_add_f64_e64 v[16:17], v[18:19], -v[8:9]
	v_add_f64_e64 v[18:19], v[76:77], -v[18:19]
	v_mul_f64_e32 v[6:7], 0.5, v[96:97]
	v_mul_f64_e32 v[76:77], 0.5, v[92:93]
	v_add_f64_e64 v[10:11], v[94:95], -v[8:9]
	v_add_f64_e64 v[80:81], v[80:81], -v[8:9]
	v_mul_f64_e32 v[90:91], 0.5, v[44:45]
	v_mul_f64_e32 v[44:45], 0.5, v[88:89]
	;; [unrolled: 1-line block ×5, first 2 shown]
	v_add_f64_e64 v[22:23], v[106:107], -v[22:23]
	v_fma_f64 v[92:93], 0x3fd00000, v[50:51], 0
	v_fmamk_f64 v[50:51], v[50:51], 0x3fd00000, v[52:53]
	v_mul_f64_e32 v[40:41], 0.5, v[40:41]
	v_add_f64_e32 v[66:67], v[36:37], v[66:67]
	v_add_f64_e64 v[58:59], v[58:59], -v[36:37]
	v_add_f64_e64 v[56:57], v[56:57], -v[60:61]
	v_add_f64_e32 v[42:43], v[60:61], v[42:43]
	v_add_f64_e64 v[34:35], v[34:35], -v[60:61]
	v_add_f64_e64 v[70:71], v[70:71], -v[16:17]
	v_add_f64_e32 v[64:65], v[16:17], v[64:65]
	v_mul_f64_e32 v[60:61], 0.5, v[68:69]
	v_mul_f64_e32 v[8:9], v[76:77], v[6:7]
	v_mul_f64_e32 v[62:63], 0.5, v[62:63]
	v_add_f64_e64 v[20:21], v[20:21], -v[36:37]
	v_mul_f64_e32 v[36:37], 0.5, v[54:55]
	v_mul_f64_e32 v[88:89], v[38:39], v[44:45]
	v_mul_f64_e32 v[18:19], 0.5, v[18:19]
	v_mul_f64_e32 v[12:13], 0.5, v[12:13]
	v_add_f64_e64 v[14:15], v[14:15], -v[16:17]
	v_mul_f64_e32 v[22:23], 0.5, v[22:23]
	v_mul_f64_e32 v[54:55], v[30:31], v[40:41]
	v_ldexp_f64 v[66:67], v[66:67], -3
	v_ldexp_f64 v[58:59], v[58:59], -3
	v_ldexp_f64 v[56:57], v[56:57], -3
	v_ldexp_f64 v[42:43], v[42:43], -3
	v_ldexp_f64 v[34:35], v[34:35], -3
	v_ldexp_f64 v[70:71], v[70:71], -3
	v_ldexp_f64 v[64:65], v[64:65], -3
	v_fma_f64 v[8:9], v[44:45], v[72:73], -v[8:9]
	v_mul_f64_e32 v[72:73], v[90:91], v[72:73]
	v_mul_f64_e32 v[44:45], 0.5, v[74:75]
	v_mul_f64_e32 v[74:75], 0.5, v[84:85]
	v_mul_f64_e32 v[16:17], v[62:63], v[60:61]
	v_ldexp_f64 v[14:15], v[14:15], -3
	v_mul_f64_e32 v[68:69], v[66:67], v[70:71]
	v_fma_f64 v[6:7], v[38:39], v[6:7], -v[72:73]
	v_mul_f64_e32 v[72:73], 0.5, v[10:11]
	v_mul_f64_e32 v[38:39], 0.5, v[78:79]
	;; [unrolled: 1-line block ×3, first 2 shown]
	v_fma_f64 v[10:11], v[90:91], v[76:77], -v[88:89]
	v_mul_f64_e32 v[76:77], 0.5, v[82:83]
	v_fma_f64 v[88:89], 0x3fd00000, v[0:1], 0
	v_fma_f64 v[90:91], 0x3fd00000, v[46:47], 0
	v_fma_f64 v[16:17], v[36:37], v[18:19], -v[16:17]
	v_ldexp_f64 v[0:1], v[20:21], -3
	v_fma_f64 v[68:69], v[58:59], v[64:65], -v[68:69]
	v_mul_f64_e32 v[64:65], v[56:57], v[64:65]
	v_mul_f64_e32 v[58:59], v[58:59], v[42:43]
	;; [unrolled: 1-line block ×4, first 2 shown]
	v_fma_f64 v[94:95], 0x3fd00000, v[10:11], 0
	v_mul_f64_e32 v[68:69], v[34:35], v[68:69]
	s_delay_alu instid0(VALU_DEP_4)
	v_fma_f64 v[84:85], v[74:75], v[78:79], -v[80:81]
	global_load_b64 v[80:81], v86, s[18:19] scale_offset
	s_wait_kmcnt 0x0
	global_load_b64 v[78:79], v86, s[12:13] scale_offset
	v_fma_f64 v[82:83], v[76:77], v[72:73], -v[82:83]
	global_load_b64 v[72:73], v86, s[14:15] scale_offset
	v_mul_f64_e32 v[74:75], v[76:77], v[74:75]
	v_fma_f64 v[76:77], 0x3fd00000, v[2:3], 0
	s_delay_alu instid0(VALU_DEP_2)
	v_fma_f64 v[38:39], v[44:45], v[38:39], -v[74:75]
	v_mul_f64_e32 v[44:45], v[32:33], v[28:29]
	v_mul_f64_e32 v[74:75], v[26:27], v[24:25]
	v_fma_f64 v[24:25], v[24:25], v[28:29], -v[54:55]
	v_mul_f64_e32 v[28:29], v[12:13], v[18:19]
	v_mul_f64_e32 v[54:55], v[22:23], v[36:37]
	v_fma_f64 v[18:19], v[42:43], v[70:71], -v[64:65]
	v_fma_f64 v[64:65], 0x3fd00000, v[6:7], 0
	v_fma_f64 v[70:71], 0x3fd00000, v[82:83], 0
	v_fmamk_f64 v[42:43], v[46:47], 0x3fd00000, v[88:89]
	v_fmamk_f64 v[46:47], v[6:7], 0x3fd00000, v[88:89]
	v_fmac_f64_e32 v[88:89], 0x3fd00000, v[82:83]
	s_delay_alu instid0(VALU_DEP_2)
	v_fmac_f64_e32 v[46:47], 0x3fd00000, v[82:83]
	v_fma_f64 v[96:97], 0x3fd00000, v[38:39], 0
	v_fma_f64 v[2:3], v[26:27], v[40:41], -v[44:45]
	v_fma_f64 v[44:45], 0x3fd00000, v[4:5], 0
	v_fma_f64 v[26:27], v[32:33], v[30:31], -v[74:75]
	v_fma_f64 v[40:41], 0x3fd00000, v[8:9], 0
	v_fma_f64 v[74:75], 0x3fd00000, v[84:85], 0
	v_fma_f64 v[20:21], v[22:23], v[60:61], -v[28:29]
	v_fmamk_f64 v[4:5], v[4:5], 0x3fd00000, v[76:77]
	v_fmamk_f64 v[28:29], v[8:9], 0x3fd00000, v[76:77]
	v_fmac_f64_e32 v[76:77], 0x3fd00000, v[84:85]
	v_fma_f64 v[22:23], v[66:67], v[56:57], -v[58:59]
	v_fmamk_f64 v[56:57], v[10:11], 0x3fd00000, v[52:53]
	v_fmac_f64_e32 v[52:53], 0x3fd00000, v[38:39]
	v_fma_f64 v[12:13], v[12:13], v[62:63], -v[54:55]
	v_fmamk_f64 v[54:55], v[6:7], 0x3fd00000, v[90:91]
	v_fmac_f64_e32 v[64:65], 0x3fd00000, v[82:83]
	v_fmamk_f64 v[58:59], v[10:11], 0x3fd00000, v[92:93]
	v_fmac_f64_e32 v[68:69], v[0:1], v[18:19]
	v_fmac_f64_e32 v[94:95], 0x3fd00000, v[38:39]
	v_fmamk_f64 v[0:1], v[8:9], 0x3fd00000, v[4:5]
	v_fmac_f64_e32 v[4:5], 0x3fd00000, v[24:25]
	v_fmamk_f64 v[6:7], v[6:7], 0x3fd00000, v[42:43]
	v_fmac_f64_e32 v[28:29], 0x3fd00000, v[84:85]
	v_fmac_f64_e32 v[56:57], 0x3fd00000, v[38:39]
	;; [unrolled: 1-line block ×3, first 2 shown]
	v_fmamk_f64 v[32:33], v[8:9], 0x3fd00000, v[44:45]
	v_fmac_f64_e32 v[44:45], 0x3fd00000, v[24:25]
	v_fmac_f64_e32 v[40:41], 0x3fd00000, v[84:85]
	v_fmac_f64_e32 v[74:75], 0x3fd00000, v[24:25]
	v_fmac_f64_e32 v[70:71], 0x3fd00000, v[2:3]
	v_fmac_f64_e32 v[92:93], 0x3fd00000, v[26:27]
	v_fmac_f64_e32 v[96:97], 0x3fd00000, v[26:27]
	v_fmac_f64_e32 v[32:33], 0x3fd00000, v[16:17]
	v_fmac_f64_e32 v[42:43], 0x3fd00000, v[2:3]
	v_fmamk_f64 v[8:9], v[10:11], 0x3fd00000, v[50:51]
	v_fmac_f64_e32 v[50:51], 0x3fd00000, v[26:27]
	v_fmac_f64_e32 v[76:77], 0x3fd00000, v[24:25]
	;; [unrolled: 1-line block ×16, first 2 shown]
	s_wait_loadcnt 0x2
	v_mul_f64_e64 v[38:39], v[80:81], -v[0:1]
	v_mul_f64_e64 v[36:37], v[80:81], -v[4:5]
	s_wait_loadcnt 0x1
	v_mul_f64_e64 v[34:35], v[78:79], -v[6:7]
	v_mul_f64_e64 v[2:3], v[80:81], -v[32:33]
	;; [unrolled: 1-line block ×3, first 2 shown]
	s_wait_loadcnt 0x0
	v_mul_f64_e64 v[30:31], v[72:73], -v[8:9]
	v_mul_f64_e64 v[16:17], v[80:81], -v[28:29]
	;; [unrolled: 1-line block ×17, first 2 shown]
	v_ldexp_f64 v[50:51], v[68:69], 3
	v_mul_f64_e64 v[12:13], v[72:73], -v[94:95]
	v_mul_f64_e64 v[14:15], v[72:73], -v[96:97]
	v_add_nc_u64_e32 v[52:53], s[4:5], v[48:49]
	v_add_nc_u64_e32 v[54:55], s[6:7], v[48:49]
	;; [unrolled: 1-line block ×3, first 2 shown]
	global_store_b128 v[52:53], v[36:39], off
	global_store_b128 v[54:55], v[32:35], off
	;; [unrolled: 1-line block ×3, first 2 shown]
	global_store_b128 v[52:53], v[16:19], off offset:16
	global_store_b128 v[54:55], v[24:27], off offset:16
	;; [unrolled: 1-line block ×3, first 2 shown]
	s_clause 0x1
	global_store_b128 v[52:53], v[0:3], off offset:32
	global_store_b128 v[52:53], v[40:43], off offset:48
	s_clause 0x1
	global_store_b128 v[54:55], v[8:11], off offset:32
	global_store_b128 v[54:55], v[44:47], off offset:48
	global_store_b128 v[48:49], v[4:7], off offset:32
	global_store_b64 v86, v[50:51], s[0:1] scale_offset
	global_store_b128 v[48:49], v[12:15], off offset:48
.LBB1_2:
	s_sendmsg sendmsg(MSG_DEALLOC_VGPRS)
	s_endpgm
	.section	.rodata,"a",@progbits
	.p2align	6, 0x0
	.amdhsa_kernel _Z15integrateStressPdS_S_PKdS1_S1_PKiS1_S1_S1_S_i
		.amdhsa_group_segment_fixed_size 0
		.amdhsa_private_segment_fixed_size 0
		.amdhsa_kernarg_size 352
		.amdhsa_user_sgpr_count 2
		.amdhsa_user_sgpr_dispatch_ptr 0
		.amdhsa_user_sgpr_queue_ptr 0
		.amdhsa_user_sgpr_kernarg_segment_ptr 1
		.amdhsa_user_sgpr_dispatch_id 0
		.amdhsa_user_sgpr_kernarg_preload_length 0
		.amdhsa_user_sgpr_kernarg_preload_offset 0
		.amdhsa_user_sgpr_private_segment_size 0
		.amdhsa_wavefront_size32 1
		.amdhsa_uses_dynamic_stack 0
		.amdhsa_enable_private_segment 0
		.amdhsa_system_sgpr_workgroup_id_x 1
		.amdhsa_system_sgpr_workgroup_id_y 0
		.amdhsa_system_sgpr_workgroup_id_z 0
		.amdhsa_system_sgpr_workgroup_info 0
		.amdhsa_system_vgpr_workitem_id 0
		.amdhsa_next_free_vgpr 108
		.amdhsa_next_free_sgpr 20
		.amdhsa_named_barrier_count 0
		.amdhsa_reserve_vcc 0
		.amdhsa_float_round_mode_32 0
		.amdhsa_float_round_mode_16_64 0
		.amdhsa_float_denorm_mode_32 3
		.amdhsa_float_denorm_mode_16_64 3
		.amdhsa_fp16_overflow 0
		.amdhsa_memory_ordered 1
		.amdhsa_forward_progress 1
		.amdhsa_inst_pref_size 24
		.amdhsa_round_robin_scheduling 0
		.amdhsa_exception_fp_ieee_invalid_op 0
		.amdhsa_exception_fp_denorm_src 0
		.amdhsa_exception_fp_ieee_div_zero 0
		.amdhsa_exception_fp_ieee_overflow 0
		.amdhsa_exception_fp_ieee_underflow 0
		.amdhsa_exception_fp_ieee_inexact 0
		.amdhsa_exception_int_div_zero 0
	.end_amdhsa_kernel
	.text
.Lfunc_end1:
	.size	_Z15integrateStressPdS_S_PKdS1_S1_PKiS1_S1_S1_S_i, .Lfunc_end1-_Z15integrateStressPdS_S_PKdS1_S1_PKiS1_S1_S1_S_i
                                        ; -- End function
	.set _Z15integrateStressPdS_S_PKdS1_S1_PKiS1_S1_S1_S_i.num_vgpr, 108
	.set _Z15integrateStressPdS_S_PKdS1_S1_PKiS1_S1_S1_S_i.num_agpr, 0
	.set _Z15integrateStressPdS_S_PKdS1_S1_PKiS1_S1_S1_S_i.numbered_sgpr, 20
	.set _Z15integrateStressPdS_S_PKdS1_S1_PKiS1_S1_S1_S_i.num_named_barrier, 0
	.set _Z15integrateStressPdS_S_PKdS1_S1_PKiS1_S1_S1_S_i.private_seg_size, 0
	.set _Z15integrateStressPdS_S_PKdS1_S1_PKiS1_S1_S1_S_i.uses_vcc, 0
	.set _Z15integrateStressPdS_S_PKdS1_S1_PKiS1_S1_S1_S_i.uses_flat_scratch, 0
	.set _Z15integrateStressPdS_S_PKdS1_S1_PKiS1_S1_S1_S_i.has_dyn_sized_stack, 0
	.set _Z15integrateStressPdS_S_PKdS1_S1_PKiS1_S1_S1_S_i.has_recursion, 0
	.set _Z15integrateStressPdS_S_PKdS1_S1_PKiS1_S1_S1_S_i.has_indirect_call, 0
	.section	.AMDGPU.csdata,"",@progbits
; Kernel info:
; codeLenInByte = 3020
; TotalNumSgprs: 20
; NumVgprs: 108
; ScratchSize: 0
; MemoryBound: 0
; FloatMode: 240
; IeeeMode: 1
; LDSByteSize: 0 bytes/workgroup (compile time only)
; SGPRBlocks: 0
; VGPRBlocks: 6
; NumSGPRsForWavesPerEU: 20
; NumVGPRsForWavesPerEU: 108
; NamedBarCnt: 0
; Occupancy: 9
; WaveLimiterHint : 0
; COMPUTE_PGM_RSRC2:SCRATCH_EN: 0
; COMPUTE_PGM_RSRC2:USER_SGPR: 2
; COMPUTE_PGM_RSRC2:TRAP_HANDLER: 0
; COMPUTE_PGM_RSRC2:TGID_X_EN: 1
; COMPUTE_PGM_RSRC2:TGID_Y_EN: 0
; COMPUTE_PGM_RSRC2:TGID_Z_EN: 0
; COMPUTE_PGM_RSRC2:TIDIG_COMP_CNT: 0
	.text
	.protected	_Z15acc_final_forcePKdS0_S0_PdS1_S1_PKiS3_i ; -- Begin function _Z15acc_final_forcePKdS0_S0_PdS1_S1_PKiS3_i
	.globl	_Z15acc_final_forcePKdS0_S0_PdS1_S1_PKiS3_i
	.p2align	8
	.type	_Z15acc_final_forcePKdS0_S0_PdS1_S1_PKiS3_i,@function
_Z15acc_final_forcePKdS0_S0_PdS1_S1_PKiS3_i: ; @_Z15acc_final_forcePKdS0_S0_PdS1_S1_PKiS3_i
; %bb.0:
	s_clause 0x1
	s_load_b32 s2, s[0:1], 0x54
	s_load_b32 s3, s[0:1], 0x40
	s_bfe_u32 s4, ttmp6, 0x4000c
	s_and_b32 s5, ttmp6, 15
	s_add_co_i32 s4, s4, 1
	s_getreg_b32 s6, hwreg(HW_REG_IB_STS2, 6, 4)
	s_mul_i32 s4, ttmp9, s4
	s_delay_alu instid0(SALU_CYCLE_1) | instskip(SKIP_4) | instid1(SALU_CYCLE_1)
	s_add_co_i32 s5, s5, s4
	s_wait_kmcnt 0x0
	s_and_b32 s2, s2, 0xffff
	s_cmp_eq_u32 s6, 0
	s_cselect_b32 s4, ttmp9, s5
	v_mad_u32 v0, s4, s2, v0
	s_mov_b32 s2, exec_lo
	s_delay_alu instid0(VALU_DEP_1)
	v_cmpx_gt_i32_e64 s3, v0
	s_cbranch_execz .LBB2_6
; %bb.1:
	s_load_b64 s[2:3], s[0:1], 0x30
	v_ashrrev_i32_e32 v1, 31, v0
	v_mov_b64_e32 v[4:5], 0
	v_mov_b64_e32 v[6:7], 0
	s_mov_b32 s8, exec_lo
	s_wait_kmcnt 0x0
	v_lshl_add_u64 v[2:3], v[0:1], 2, s[2:3]
	global_load_b64 v[8:9], v[2:3], off
	s_wait_xcnt 0x0
	v_mov_b64_e32 v[2:3], 0
	s_wait_loadcnt 0x0
	v_sub_nc_u32_e32 v10, v9, v8
	s_delay_alu instid0(VALU_DEP_1)
	v_cmpx_lt_i32_e32 0, v10
	s_cbranch_execz .LBB2_5
; %bb.2:
	s_clause 0x2
	s_load_b64 s[10:11], s[0:1], 0x38
	s_load_b128 s[4:7], s[0:1], 0x0
	s_load_b64 s[2:3], s[0:1], 0x10
	v_ashrrev_i32_e32 v9, 31, v8
	v_mov_b64_e32 v[2:3], 0
	v_mov_b64_e32 v[4:5], 0
	v_mov_b64_e32 v[6:7], 0
	s_mov_b32 s9, 0
	s_wait_kmcnt 0x0
	v_lshl_add_u64 v[8:9], v[8:9], 2, s[10:11]
	s_mov_b32 s10, 0
.LBB2_3:                                ; =>This Inner Loop Header: Depth=1
	global_load_b32 v11, v[8:9], off
	s_add_co_i32 s10, s10, 1
	s_wait_xcnt 0x0
	v_add_nc_u64_e32 v[8:9], 4, v[8:9]
	v_cmp_ge_i32_e32 vcc_lo, s10, v10
	s_wait_loadcnt 0x0
	s_clause 0x2
	global_load_b64 v[12:13], v11, s[4:5] scale_offset
	global_load_b64 v[14:15], v11, s[6:7] scale_offset
	;; [unrolled: 1-line block ×3, first 2 shown]
	s_or_b32 s9, vcc_lo, s9
	s_wait_loadcnt 0x2
	v_add_f64_e32 v[6:7], v[6:7], v[12:13]
	s_wait_loadcnt 0x1
	v_add_f64_e32 v[4:5], v[4:5], v[14:15]
	;; [unrolled: 2-line block ×3, first 2 shown]
	s_and_not1_b32 exec_lo, exec_lo, s9
	s_cbranch_execnz .LBB2_3
; %bb.4:
	s_or_b32 exec_lo, exec_lo, s9
.LBB2_5:
	s_delay_alu instid0(SALU_CYCLE_1)
	s_or_b32 exec_lo, exec_lo, s8
	s_clause 0x1
	s_load_b128 s[4:7], s[0:1], 0x18
	s_load_b64 s[2:3], s[0:1], 0x28
	v_lshlrev_b64_e32 v[0:1], 3, v[0:1]
	s_wait_kmcnt 0x0
	s_delay_alu instid0(VALU_DEP_1)
	v_add_nc_u64_e32 v[8:9], s[4:5], v[0:1]
	v_add_nc_u64_e32 v[10:11], s[6:7], v[0:1]
	v_add_nc_u64_e32 v[0:1], s[2:3], v[0:1]
	global_store_b64 v[8:9], v[6:7], off
	global_store_b64 v[10:11], v[4:5], off
	;; [unrolled: 1-line block ×3, first 2 shown]
.LBB2_6:
	s_endpgm
	.section	.rodata,"a",@progbits
	.p2align	6, 0x0
	.amdhsa_kernel _Z15acc_final_forcePKdS0_S0_PdS1_S1_PKiS3_i
		.amdhsa_group_segment_fixed_size 0
		.amdhsa_private_segment_fixed_size 0
		.amdhsa_kernarg_size 328
		.amdhsa_user_sgpr_count 2
		.amdhsa_user_sgpr_dispatch_ptr 0
		.amdhsa_user_sgpr_queue_ptr 0
		.amdhsa_user_sgpr_kernarg_segment_ptr 1
		.amdhsa_user_sgpr_dispatch_id 0
		.amdhsa_user_sgpr_kernarg_preload_length 0
		.amdhsa_user_sgpr_kernarg_preload_offset 0
		.amdhsa_user_sgpr_private_segment_size 0
		.amdhsa_wavefront_size32 1
		.amdhsa_uses_dynamic_stack 0
		.amdhsa_enable_private_segment 0
		.amdhsa_system_sgpr_workgroup_id_x 1
		.amdhsa_system_sgpr_workgroup_id_y 0
		.amdhsa_system_sgpr_workgroup_id_z 0
		.amdhsa_system_sgpr_workgroup_info 0
		.amdhsa_system_vgpr_workitem_id 0
		.amdhsa_next_free_vgpr 18
		.amdhsa_next_free_sgpr 12
		.amdhsa_named_barrier_count 0
		.amdhsa_reserve_vcc 1
		.amdhsa_float_round_mode_32 0
		.amdhsa_float_round_mode_16_64 0
		.amdhsa_float_denorm_mode_32 3
		.amdhsa_float_denorm_mode_16_64 3
		.amdhsa_fp16_overflow 0
		.amdhsa_memory_ordered 1
		.amdhsa_forward_progress 1
		.amdhsa_inst_pref_size 4
		.amdhsa_round_robin_scheduling 0
		.amdhsa_exception_fp_ieee_invalid_op 0
		.amdhsa_exception_fp_denorm_src 0
		.amdhsa_exception_fp_ieee_div_zero 0
		.amdhsa_exception_fp_ieee_overflow 0
		.amdhsa_exception_fp_ieee_underflow 0
		.amdhsa_exception_fp_ieee_inexact 0
		.amdhsa_exception_int_div_zero 0
	.end_amdhsa_kernel
	.text
.Lfunc_end2:
	.size	_Z15acc_final_forcePKdS0_S0_PdS1_S1_PKiS3_i, .Lfunc_end2-_Z15acc_final_forcePKdS0_S0_PdS1_S1_PKiS3_i
                                        ; -- End function
	.set _Z15acc_final_forcePKdS0_S0_PdS1_S1_PKiS3_i.num_vgpr, 18
	.set _Z15acc_final_forcePKdS0_S0_PdS1_S1_PKiS3_i.num_agpr, 0
	.set _Z15acc_final_forcePKdS0_S0_PdS1_S1_PKiS3_i.numbered_sgpr, 12
	.set _Z15acc_final_forcePKdS0_S0_PdS1_S1_PKiS3_i.num_named_barrier, 0
	.set _Z15acc_final_forcePKdS0_S0_PdS1_S1_PKiS3_i.private_seg_size, 0
	.set _Z15acc_final_forcePKdS0_S0_PdS1_S1_PKiS3_i.uses_vcc, 1
	.set _Z15acc_final_forcePKdS0_S0_PdS1_S1_PKiS3_i.uses_flat_scratch, 0
	.set _Z15acc_final_forcePKdS0_S0_PdS1_S1_PKiS3_i.has_dyn_sized_stack, 0
	.set _Z15acc_final_forcePKdS0_S0_PdS1_S1_PKiS3_i.has_recursion, 0
	.set _Z15acc_final_forcePKdS0_S0_PdS1_S1_PKiS3_i.has_indirect_call, 0
	.section	.AMDGPU.csdata,"",@progbits
; Kernel info:
; codeLenInByte = 444
; TotalNumSgprs: 14
; NumVgprs: 18
; ScratchSize: 0
; MemoryBound: 0
; FloatMode: 240
; IeeeMode: 1
; LDSByteSize: 0 bytes/workgroup (compile time only)
; SGPRBlocks: 0
; VGPRBlocks: 1
; NumSGPRsForWavesPerEU: 14
; NumVGPRsForWavesPerEU: 18
; NamedBarCnt: 0
; Occupancy: 16
; WaveLimiterHint : 1
; COMPUTE_PGM_RSRC2:SCRATCH_EN: 0
; COMPUTE_PGM_RSRC2:USER_SGPR: 2
; COMPUTE_PGM_RSRC2:TRAP_HANDLER: 0
; COMPUTE_PGM_RSRC2:TGID_X_EN: 1
; COMPUTE_PGM_RSRC2:TGID_Y_EN: 0
; COMPUTE_PGM_RSRC2:TGID_Z_EN: 0
; COMPUTE_PGM_RSRC2:TIDIG_COMP_CNT: 0
	.text
	.protected	_Z3hgcPdS_S_S_S_S_S_PKdS1_S1_PKiS1_S1_Pii ; -- Begin function _Z3hgcPdS_S_S_S_S_S_PKdS1_S1_PKiS1_S1_Pii
	.globl	_Z3hgcPdS_S_S_S_S_S_PKdS1_S1_PKiS1_S1_Pii
	.p2align	8
	.type	_Z3hgcPdS_S_S_S_S_S_PKdS1_S1_PKiS1_S1_Pii,@function
_Z3hgcPdS_S_S_S_S_S_PKdS1_S1_PKiS1_S1_Pii: ; @_Z3hgcPdS_S_S_S_S_S_PKdS1_S1_PKiS1_S1_Pii
; %bb.0:
	s_clause 0x1
	s_load_b32 s2, s[0:1], 0x84
	s_load_b32 s3, s[0:1], 0x70
	s_bfe_u32 s4, ttmp6, 0x4000c
	s_and_b32 s5, ttmp6, 15
	s_add_co_i32 s4, s4, 1
	s_getreg_b32 s6, hwreg(HW_REG_IB_STS2, 6, 4)
	s_mul_i32 s4, ttmp9, s4
	s_delay_alu instid0(SALU_CYCLE_1) | instskip(SKIP_4) | instid1(SALU_CYCLE_1)
	s_add_co_i32 s5, s5, s4
	s_wait_kmcnt 0x0
	s_and_b32 s2, s2, 0xffff
	s_cmp_eq_u32 s6, 0
	s_cselect_b32 s4, ttmp9, s5
	v_mad_u32 v88, s4, s2, v0
	s_mov_b32 s2, exec_lo
	s_delay_alu instid0(VALU_DEP_1)
	v_cmpx_gt_i32_e64 s3, v88
	s_cbranch_execz .LBB3_3
; %bb.1:
	s_load_b256 s[12:19], s[0:1], 0x40
	v_lshlrev_b32_e32 v12, 3, v88
	s_clause 0x2
	s_load_b256 s[4:11], s[0:1], 0x20
	s_load_b256 s[20:27], s[0:1], 0x0
	s_load_b64 s[2:3], s[0:1], 0x60
	v_ashrrev_i32_e32 v13, 31, v12
	s_wait_kmcnt 0x0
	s_delay_alu instid0(VALU_DEP_1)
	v_lshl_add_u64 v[0:1], v[12:13], 2, s[16:17]
	s_clause 0x1
	global_load_b128 v[52:55], v[0:1], off
	global_load_b128 v[48:51], v[0:1], off offset:16
	s_wait_loadcnt 0x1
	s_clause 0x1
	global_load_b64 v[46:47], v53, s[12:13] scale_offset
	global_load_b64 v[40:41], v54, s[12:13] scale_offset
	s_wait_loadcnt 0x2
	s_clause 0x5
	global_load_b64 v[22:23], v49, s[12:13] scale_offset
	global_load_b64 v[44:45], v52, s[12:13] scale_offset
	;; [unrolled: 1-line block ×6, first 2 shown]
	s_clause 0x7
	global_load_b64 v[32:33], v52, s[10:11] scale_offset
	global_load_b64 v[34:35], v53, s[10:11] scale_offset
	;; [unrolled: 1-line block ×8, first 2 shown]
	s_clause 0x6
	global_load_b64 v[4:5], v54, s[14:15] scale_offset
	global_load_b64 v[6:7], v55, s[14:15] scale_offset
	;; [unrolled: 1-line block ×7, first 2 shown]
	s_wait_loadcnt 0xd
	v_add_f64_e32 v[68:69], v[32:33], v[34:35]
	s_wait_loadcnt 0xc
	v_add_f64_e32 v[62:63], v[34:35], v[28:29]
	;; [unrolled: 2-line block ×4, first 2 shown]
	v_add_f64_e32 v[60:61], v[46:47], v[22:23]
	s_wait_xcnt 0x5
	v_add_f64_e32 v[54:55], v[44:45], v[46:47]
	s_wait_xcnt 0x3
	v_lshlrev_b64_e32 v[52:53], 3, v[12:13]
	global_load_b64 v[12:13], v48, s[14:15] scale_offset
	s_wait_xcnt 0x0
	v_add_f64_e32 v[48:49], v[46:47], v[40:41]
	v_add_f64_e32 v[50:51], v[40:41], v[42:43]
	;; [unrolled: 1-line block ×4, first 2 shown]
	s_wait_loadcnt 0x4
	v_add_f64_e32 v[80:81], v[8:9], v[10:11]
	v_add_nc_u64_e32 v[70:71], s[26:27], v[52:53]
	v_add_nc_u64_e32 v[58:59], s[4:5], v[52:53]
	s_wait_loadcnt 0x2
	v_add_f64_e32 v[90:91], v[14:15], v[0:1]
	s_wait_loadcnt 0x1
	v_add_f64_e32 v[82:83], v[0:1], v[2:3]
	v_add_f64_e32 v[112:113], v[4:5], v[0:1]
	;; [unrolled: 1-line block ×3, first 2 shown]
	s_clause 0x1
	global_store_b128 v[70:71], v[32:35], off
	global_store_b128 v[70:71], v[28:31], off offset:16
	s_wait_xcnt 0x1
	v_add_f64_e32 v[34:35], v[4:5], v[6:7]
	s_clause 0x1
	global_store_b128 v[58:59], v[44:47], off
	global_store_b128 v[58:59], v[40:43], off offset:16
	s_wait_xcnt 0x1
	v_add_f64_e32 v[46:47], v[44:45], v[20:21]
	v_add_f64_e32 v[44:45], v[44:45], v[42:43]
	s_wait_xcnt 0x0
	v_add_f64_e32 v[42:43], v[42:43], v[18:19]
	s_clause 0x1
	global_store_b128 v[58:59], v[20:23], off offset:32
	global_store_b128 v[58:59], v[16:19], off offset:48
	v_add_f64_e32 v[40:41], v[20:21], v[22:23]
	s_wait_xcnt 0x1
	v_add_f64_e32 v[20:21], v[20:21], v[18:19]
	s_wait_xcnt 0x0
	v_add_f64_e32 v[58:59], v[16:17], v[18:19]
	v_add_f64_e32 v[16:17], v[32:33], v[24:25]
	;; [unrolled: 1-line block ×6, first 2 shown]
	s_clause 0x1
	global_store_b128 v[70:71], v[24:27], off offset:32
	global_store_b128 v[70:71], v[36:39], off offset:48
	v_add_f64_e32 v[22:23], v[24:25], v[26:27]
	s_wait_xcnt 0x1
	v_add_f64_e32 v[24:25], v[24:25], v[38:39]
	v_add_f64_e32 v[26:27], v[36:37], v[38:39]
	s_wait_xcnt 0x0
	v_add_f64_e32 v[36:37], v[10:11], v[4:5]
	v_mul_f64_e32 v[106:107], v[72:73], v[82:83]
	v_mul_f64_e32 v[38:39], v[48:49], v[34:35]
	;; [unrolled: 1-line block ×8, first 2 shown]
	v_fma_f64 v[106:107], v[26:27], v[90:91], -v[106:107]
	v_fma_f64 v[70:71], v[50:51], v[36:37], -v[38:39]
	v_mul_f64_e32 v[38:39], v[62:63], v[50:51]
	v_fma_f64 v[110:111], v[18:19], v[50:51], -v[110:111]
	v_fma_f64 v[98:99], v[24:25], v[40:41], -v[98:99]
	v_fma_f64 v[122:123], v[26:27], v[20:21], -v[122:123]
	v_fma_f64 v[120:121], v[48:49], v[80:81], -v[120:121]
	v_fma_f64 v[74:75], v[32:33], v[48:49], -v[38:39]
	v_add_f64_e32 v[38:39], v[8:9], v[6:7]
	v_fma_f64 v[110:111], -v[72:73], v[56:57], v[110:111]
	v_fma_f64 v[98:99], -v[62:63], v[60:61], v[98:99]
	;; [unrolled: 1-line block ×4, first 2 shown]
	v_fma_f64 v[78:79], v[54:55], v[38:39], -v[76:77]
	v_mul_f64_e32 v[76:77], v[18:19], v[54:55]
	v_fma_f64 v[104:105], v[32:33], v[38:39], -v[104:105]
	v_fma_f64 v[106:107], -v[30:31], v[38:39], v[106:107]
	v_fmac_f64_e32 v[110:111], v[28:29], v[66:67]
	v_fmac_f64_e32 v[98:99], v[64:65], v[48:49]
	;; [unrolled: 1-line block ×5, first 2 shown]
	v_fma_f64 v[84:85], v[68:69], v[44:45], -v[76:77]
	v_mul_f64_e32 v[76:77], v[58:59], v[90:91]
	v_fma_f64 v[104:105], -v[28:29], v[90:91], v[104:105]
	v_fmac_f64_e32 v[110:111], v[22:23], v[46:47]
	v_fmac_f64_e32 v[98:99], v[32:33], v[42:43]
	;; [unrolled: 1-line block ×4, first 2 shown]
	v_fma_f64 v[100:101], -v[26:27], v[42:43], v[84:85]
	v_fma_f64 v[92:93], v[66:67], v[82:83], -v[76:77]
	v_mul_f64_e32 v[76:77], v[26:27], v[66:67]
	v_add_f64_e32 v[84:85], v[6:7], v[2:3]
	v_fmac_f64_e32 v[104:105], v[72:73], v[112:113]
	v_fmac_f64_e32 v[100:101], v[30:31], v[58:59]
	;; [unrolled: 1-line block ×3, first 2 shown]
	v_fma_f64 v[94:95], v[72:73], v[58:59], -v[76:77]
	v_fma_f64 v[78:79], -v[58:59], v[84:85], v[78:79]
	v_fmac_f64_e32 v[106:107], v[18:19], v[84:85]
	v_fmac_f64_e32 v[100:101], v[72:73], v[60:61]
	v_fma_f64 v[92:93], -v[44:45], v[84:85], v[92:93]
	v_fma_f64 v[94:95], -v[18:19], v[42:43], v[94:95]
	;; [unrolled: 1-line block ×3, first 2 shown]
	v_fmac_f64_e32 v[106:107], v[64:65], v[80:81]
	s_delay_alu instid0(VALU_DEP_4) | instskip(NEXT) | instid1(VALU_DEP_4)
	v_fma_f64 v[74:75], -v[60:61], v[80:81], v[92:93]
	v_fmac_f64_e32 v[94:95], v[30:31], v[44:45]
	v_mul_f64_e32 v[92:93], v[50:51], v[38:39]
	v_fmac_f64_e32 v[78:79], v[66:67], v[114:115]
	s_wait_loadcnt 0x0
	v_add_f64_e32 v[86:87], v[12:13], v[2:3]
	v_add_f64_e32 v[76:77], v[12:13], v[14:15]
	;; [unrolled: 1-line block ×3, first 2 shown]
	v_fmac_f64_e32 v[74:75], v[54:55], v[114:115]
	v_fmac_f64_e32 v[94:95], v[68:69], v[60:61]
	v_fma_f64 v[92:93], v[44:45], v[34:35], -v[92:93]
	v_mul_f64_e32 v[96:97], v[40:41], v[86:87]
	v_fmac_f64_e32 v[70:71], v[60:61], v[76:77]
	v_mul_f64_e32 v[108:109], v[66:67], v[76:77]
	v_mul_f64_e32 v[116:117], v[24:25], v[76:77]
	v_fmac_f64_e32 v[120:121], v[46:47], v[86:87]
	v_fmac_f64_e32 v[104:105], v[16:17], v[76:77]
	v_fma_f64 v[94:95], -v[64:65], v[54:55], v[94:95]
	v_fmac_f64_e32 v[92:93], v[56:57], v[90:91]
	v_fma_f64 v[96:97], v[20:21], v[76:77], -v[96:97]
	v_fma_f64 v[118:119], -v[40:41], v[114:115], v[70:71]
	v_fma_f64 v[108:109], v[40:41], v[90:91], -v[108:109]
	v_fma_f64 v[116:117], v[22:23], v[86:87], -v[116:117]
	v_fma_f64 v[70:71], -v[68:69], v[114:115], v[106:107]
	v_mul_f64_e32 v[106:107], v[20:21], v[82:83]
	v_fma_f64 v[92:93], -v[66:67], v[112:113], v[92:93]
	v_fmac_f64_e32 v[96:97], v[60:61], v[36:37]
	v_mul_f64_e32 v[60:61], v[68:69], v[38:39]
	v_fmac_f64_e32 v[108:109], v[56:57], v[34:35]
	v_fma_f64 v[116:117], -v[64:65], v[36:37], v[116:117]
	v_fma_f64 v[106:107], v[58:59], v[86:87], -v[106:107]
	v_fma_f64 v[96:97], -v[48:49], v[114:115], v[96:97]
	v_fma_f64 v[60:61], v[18:19], v[80:81], -v[60:61]
	s_delay_alu instid0(VALU_DEP_4) | instskip(NEXT) | instid1(VALU_DEP_4)
	v_fmac_f64_e32 v[116:117], v[62:63], v[114:115]
	v_fmac_f64_e32 v[106:107], v[46:47], v[80:81]
	s_delay_alu instid0(VALU_DEP_3) | instskip(NEXT) | instid1(VALU_DEP_3)
	v_fma_f64 v[60:61], -v[30:31], v[82:83], v[60:61]
	v_fmac_f64_e32 v[116:117], v[30:31], v[34:35]
	s_delay_alu instid0(VALU_DEP_3) | instskip(NEXT) | instid1(VALU_DEP_3)
	v_fma_f64 v[106:107], -v[54:55], v[124:125], v[106:107]
	v_fmac_f64_e32 v[60:61], v[26:27], v[84:85]
	s_delay_alu instid0(VALU_DEP_1) | instskip(SKIP_1) | instid1(VALU_DEP_2)
	v_fmac_f64_e32 v[60:61], v[64:65], v[90:91]
	v_mul_f64_e32 v[90:91], v[22:23], v[90:91]
	v_fma_f64 v[60:61], -v[72:73], v[114:115], v[60:61]
	s_delay_alu instid0(VALU_DEP_2) | instskip(SKIP_1) | instid1(VALU_DEP_1)
	v_fma_f64 v[90:91], v[72:73], v[76:77], -v[90:91]
	v_mul_f64_e32 v[72:73], v[72:73], v[40:41]
	v_fma_f64 v[72:73], v[22:23], v[66:67], -v[72:73]
	v_fma_f64 v[66:67], -v[64:65], v[66:67], v[100:101]
	v_mul_f64_e32 v[100:101], v[32:33], v[36:37]
	s_delay_alu instid0(VALU_DEP_1) | instskip(NEXT) | instid1(VALU_DEP_1)
	v_fma_f64 v[100:101], v[62:63], v[34:35], -v[100:101]
	v_fma_f64 v[100:101], -v[64:65], v[76:77], v[100:101]
	v_fma_f64 v[64:65], -v[42:43], v[86:87], v[118:119]
	s_delay_alu instid0(VALU_DEP_2) | instskip(SKIP_1) | instid1(VALU_DEP_3)
	v_fmac_f64_e32 v[100:101], v[22:23], v[114:115]
	v_mul_f64_e32 v[114:115], v[26:27], v[86:87]
	v_fmac_f64_e32 v[64:65], v[20:21], v[84:85]
	v_fma_f64 v[22:23], -v[22:23], v[124:125], v[104:105]
	s_delay_alu instid0(VALU_DEP_4) | instskip(NEXT) | instid1(VALU_DEP_4)
	v_fmac_f64_e32 v[100:101], v[30:31], v[86:87]
	v_fma_f64 v[114:115], v[24:25], v[82:83], -v[114:115]
	s_delay_alu instid0(VALU_DEP_1) | instskip(SKIP_1) | instid1(VALU_DEP_2)
	v_fma_f64 v[114:115], -v[16:17], v[80:81], v[114:115]
	v_mul_f64_e32 v[80:81], v[62:63], v[80:81]
	v_fmac_f64_e32 v[114:115], v[68:69], v[124:125]
	s_delay_alu instid0(VALU_DEP_2) | instskip(SKIP_1) | instid1(VALU_DEP_3)
	v_fma_f64 v[80:81], v[68:69], v[36:37], -v[80:81]
	v_mul_f64_e32 v[68:69], v[68:69], v[48:49]
	v_fmac_f64_e32 v[114:115], v[28:29], v[36:37]
	s_delay_alu instid0(VALU_DEP_2) | instskip(NEXT) | instid1(VALU_DEP_4)
	v_fma_f64 v[68:69], v[62:63], v[54:55], -v[68:69]
	v_fma_f64 v[54:55], -v[16:17], v[86:87], v[80:81]
	v_fma_f64 v[80:81], -v[20:21], v[124:125], v[120:121]
	s_delay_alu instid0(VALU_DEP_2) | instskip(NEXT) | instid1(VALU_DEP_2)
	v_fmac_f64_e32 v[54:55], v[24:25], v[124:125]
	v_fma_f64 v[80:81], -v[56:57], v[82:83], v[80:81]
	s_delay_alu instid0(VALU_DEP_2)
	v_fmac_f64_e32 v[54:55], v[28:29], v[82:83]
	v_fma_f64 v[82:83], -v[56:57], v[36:37], v[106:107]
	v_fma_f64 v[36:37], -v[24:25], v[46:47], v[68:69]
	;; [unrolled: 1-line block ×4, first 2 shown]
	v_fmac_f64_e32 v[80:81], v[58:59], v[112:113]
	v_fma_f64 v[42:43], -v[62:63], v[112:113], v[114:115]
	v_fma_f64 v[62:63], -v[30:31], v[50:51], v[98:99]
	v_fma_f64 v[24:25], -v[24:25], v[84:85], v[100:101]
	v_fmac_f64_e32 v[82:83], v[48:49], v[112:113]
	v_fmac_f64_e32 v[36:37], v[16:17], v[20:21]
	;; [unrolled: 1-line block ×3, first 2 shown]
	v_fma_f64 v[48:49], -v[28:29], v[48:49], v[122:123]
	v_fma_f64 v[20:21], -v[30:31], v[20:21], v[102:103]
	v_fmac_f64_e32 v[72:73], v[50:51], v[84:85]
	v_fma_f64 v[30:31], -v[16:17], v[40:41], v[110:111]
	v_fmac_f64_e32 v[36:37], v[26:27], v[56:57]
	;; [unrolled: 2-line block ×3, first 2 shown]
	v_fma_f64 v[26:27], -v[26:27], v[112:113], v[54:55]
	v_add_nc_u64_e32 v[54:55], s[6:7], v[52:53]
	s_clause 0x2
	global_store_b128 v[54:55], v[8:11], off
	global_store_b128 v[54:55], v[4:7], off offset:16
	global_store_b128 v[54:55], v[12:15], off offset:32
	s_wait_xcnt 0x0
	v_mul_f64_e32 v[14:15], 0x3fb5555555555555, v[80:81]
	v_mul_f64_e32 v[12:13], 0x3fb5555555555555, v[78:79]
	;; [unrolled: 1-line block ×5, first 2 shown]
	v_fma_f64 v[34:35], -v[28:29], v[58:59], v[36:37]
	v_fmac_f64_e32 v[56:57], v[32:33], v[112:113]
	v_fma_f64 v[36:37], -v[50:51], v[112:113], v[108:109]
	v_fma_f64 v[28:29], -v[46:47], v[76:77], v[92:93]
	;; [unrolled: 1-line block ×3, first 2 shown]
	v_mul_f64_e32 v[32:33], 0x3fb5555555555555, v[24:25]
	v_mul_f64_e32 v[10:11], 0x3fb5555555555555, v[26:27]
	;; [unrolled: 1-line block ×5, first 2 shown]
	v_fmac_f64_e32 v[56:57], v[16:17], v[38:39]
	v_fma_f64 v[50:51], -v[46:47], v[38:39], v[36:37]
	v_fmac_f64_e32 v[28:29], v[40:41], v[124:125]
	v_mul_f64_e32 v[34:35], 0x3fb5555555555555, v[22:23]
	v_mul_f64_e32 v[22:23], 0x3fb5555555555555, v[42:43]
	;; [unrolled: 1-line block ×3, first 2 shown]
	v_fma_f64 v[40:41], -v[18:19], v[124:125], v[56:57]
	v_fma_f64 v[56:57], -v[16:17], v[44:45], v[68:69]
	v_fmac_f64_e32 v[50:51], v[44:45], v[124:125]
	v_mul_f64_e32 v[44:45], 0x3fb5555555555555, v[58:59]
	v_mul_f64_e32 v[38:39], 0x3fb5555555555555, v[28:29]
	;; [unrolled: 1-line block ×9, first 2 shown]
	s_clause 0x1
	global_load_b64 v[56:57], v88, s[18:19] scale_offset
	global_load_b64 v[58:59], v88, s[2:3] scale_offset
	v_mul_f64_e32 v[50:51], 0x3fb5555555555555, v[50:51]
	v_mul_f64_e32 v[40:41], 0x3fb5555555555555, v[62:63]
	global_store_b128 v[54:55], v[0:3], off offset:48
	s_wait_xcnt 0x0
	v_add_nc_u64_e32 v[0:1], s[20:21], v[52:53]
	v_add_nc_u64_e32 v[2:3], s[22:23], v[52:53]
	;; [unrolled: 1-line block ×3, first 2 shown]
	s_wait_loadcnt 0x0
	v_cmp_ge_f64_e32 vcc_lo, 0, v[58:59]
	v_mul_f64_e32 v[56:57], v[56:57], v[58:59]
	s_clause 0x1
	global_store_b128 v[0:1], v[36:39], off
	global_store_b128 v[0:1], v[12:15], off offset:16
	s_clause 0x1
	global_store_b128 v[2:3], v[32:35], off
	global_store_b128 v[2:3], v[8:11], off offset:16
	;; [unrolled: 3-line block ×3, first 2 shown]
	s_clause 0x1
	global_store_b128 v[0:1], v[24:27], off offset:32
	global_store_b128 v[0:1], v[48:51], off offset:48
	s_clause 0x1
	global_store_b128 v[2:3], v[20:23], off offset:32
	global_store_b128 v[2:3], v[44:47], off offset:48
	;; [unrolled: 3-line block ×3, first 2 shown]
	global_store_b64 v88, v[56:57], s[8:9] scale_offset
	s_wait_xcnt 0x0
	s_and_b32 exec_lo, exec_lo, vcc_lo
	s_cbranch_execz .LBB3_3
; %bb.2:
	s_load_b64 s[0:1], s[0:1], 0x68
	v_mov_b32_e32 v0, 0
	s_wait_kmcnt 0x0
	global_store_b32 v0, v88, s[0:1]
.LBB3_3:
	s_sendmsg sendmsg(MSG_DEALLOC_VGPRS)
	s_endpgm
	.section	.rodata,"a",@progbits
	.p2align	6, 0x0
	.amdhsa_kernel _Z3hgcPdS_S_S_S_S_S_PKdS1_S1_PKiS1_S1_Pii
		.amdhsa_group_segment_fixed_size 0
		.amdhsa_private_segment_fixed_size 0
		.amdhsa_kernarg_size 376
		.amdhsa_user_sgpr_count 2
		.amdhsa_user_sgpr_dispatch_ptr 0
		.amdhsa_user_sgpr_queue_ptr 0
		.amdhsa_user_sgpr_kernarg_segment_ptr 1
		.amdhsa_user_sgpr_dispatch_id 0
		.amdhsa_user_sgpr_kernarg_preload_length 0
		.amdhsa_user_sgpr_kernarg_preload_offset 0
		.amdhsa_user_sgpr_private_segment_size 0
		.amdhsa_wavefront_size32 1
		.amdhsa_uses_dynamic_stack 0
		.amdhsa_enable_private_segment 0
		.amdhsa_system_sgpr_workgroup_id_x 1
		.amdhsa_system_sgpr_workgroup_id_y 0
		.amdhsa_system_sgpr_workgroup_id_z 0
		.amdhsa_system_sgpr_workgroup_info 0
		.amdhsa_system_vgpr_workitem_id 0
		.amdhsa_next_free_vgpr 126
		.amdhsa_next_free_sgpr 28
		.amdhsa_named_barrier_count 0
		.amdhsa_reserve_vcc 1
		.amdhsa_float_round_mode_32 0
		.amdhsa_float_round_mode_16_64 0
		.amdhsa_float_denorm_mode_32 3
		.amdhsa_float_denorm_mode_16_64 3
		.amdhsa_fp16_overflow 0
		.amdhsa_memory_ordered 1
		.amdhsa_forward_progress 1
		.amdhsa_inst_pref_size 19
		.amdhsa_round_robin_scheduling 0
		.amdhsa_exception_fp_ieee_invalid_op 0
		.amdhsa_exception_fp_denorm_src 0
		.amdhsa_exception_fp_ieee_div_zero 0
		.amdhsa_exception_fp_ieee_overflow 0
		.amdhsa_exception_fp_ieee_underflow 0
		.amdhsa_exception_fp_ieee_inexact 0
		.amdhsa_exception_int_div_zero 0
	.end_amdhsa_kernel
	.text
.Lfunc_end3:
	.size	_Z3hgcPdS_S_S_S_S_S_PKdS1_S1_PKiS1_S1_Pii, .Lfunc_end3-_Z3hgcPdS_S_S_S_S_S_PKdS1_S1_PKiS1_S1_Pii
                                        ; -- End function
	.set _Z3hgcPdS_S_S_S_S_S_PKdS1_S1_PKiS1_S1_Pii.num_vgpr, 126
	.set _Z3hgcPdS_S_S_S_S_S_PKdS1_S1_PKiS1_S1_Pii.num_agpr, 0
	.set _Z3hgcPdS_S_S_S_S_S_PKdS1_S1_PKiS1_S1_Pii.numbered_sgpr, 28
	.set _Z3hgcPdS_S_S_S_S_S_PKdS1_S1_PKiS1_S1_Pii.num_named_barrier, 0
	.set _Z3hgcPdS_S_S_S_S_S_PKdS1_S1_PKiS1_S1_Pii.private_seg_size, 0
	.set _Z3hgcPdS_S_S_S_S_S_PKdS1_S1_PKiS1_S1_Pii.uses_vcc, 1
	.set _Z3hgcPdS_S_S_S_S_S_PKdS1_S1_PKiS1_S1_Pii.uses_flat_scratch, 0
	.set _Z3hgcPdS_S_S_S_S_S_PKdS1_S1_PKiS1_S1_Pii.has_dyn_sized_stack, 0
	.set _Z3hgcPdS_S_S_S_S_S_PKdS1_S1_PKiS1_S1_Pii.has_recursion, 0
	.set _Z3hgcPdS_S_S_S_S_S_PKdS1_S1_PKiS1_S1_Pii.has_indirect_call, 0
	.section	.AMDGPU.csdata,"",@progbits
; Kernel info:
; codeLenInByte = 2392
; TotalNumSgprs: 30
; NumVgprs: 126
; ScratchSize: 0
; MemoryBound: 0
; FloatMode: 240
; IeeeMode: 1
; LDSByteSize: 0 bytes/workgroup (compile time only)
; SGPRBlocks: 0
; VGPRBlocks: 7
; NumSGPRsForWavesPerEU: 30
; NumVGPRsForWavesPerEU: 126
; NamedBarCnt: 0
; Occupancy: 8
; WaveLimiterHint : 0
; COMPUTE_PGM_RSRC2:SCRATCH_EN: 0
; COMPUTE_PGM_RSRC2:USER_SGPR: 2
; COMPUTE_PGM_RSRC2:TRAP_HANDLER: 0
; COMPUTE_PGM_RSRC2:TGID_X_EN: 1
; COMPUTE_PGM_RSRC2:TGID_Y_EN: 0
; COMPUTE_PGM_RSRC2:TGID_Z_EN: 0
; COMPUTE_PGM_RSRC2:TIDIG_COMP_CNT: 0
	.text
	.protected	_Z2fbPKdS0_S0_S0_S0_S0_S0_S0_S0_S0_S0_S0_PKiS0_PdS3_S3_di ; -- Begin function _Z2fbPKdS0_S0_S0_S0_S0_S0_S0_S0_S0_S0_S0_PKiS0_PdS3_S3_di
	.globl	_Z2fbPKdS0_S0_S0_S0_S0_S0_S0_S0_S0_S0_S0_PKiS0_PdS3_S3_di
	.p2align	8
	.type	_Z2fbPKdS0_S0_S0_S0_S0_S0_S0_S0_S0_S0_S0_PKiS0_PdS3_S3_di,@function
_Z2fbPKdS0_S0_S0_S0_S0_S0_S0_S0_S0_S0_S0_PKiS0_PdS3_S3_di: ; @_Z2fbPKdS0_S0_S0_S0_S0_S0_S0_S0_S0_S0_S0_PKiS0_PdS3_S3_di
; %bb.0:
	s_clause 0x1
	s_load_b32 s2, s[0:1], 0xa4
	s_load_b32 s3, s[0:1], 0x90
	s_bfe_u32 s4, ttmp6, 0x4000c
	s_and_b32 s5, ttmp6, 15
	s_add_co_i32 s4, s4, 1
	s_getreg_b32 s6, hwreg(HW_REG_IB_STS2, 6, 4)
	s_mul_i32 s4, ttmp9, s4
	s_delay_alu instid0(SALU_CYCLE_1) | instskip(SKIP_4) | instid1(SALU_CYCLE_1)
	s_add_co_i32 s5, s5, s4
	s_wait_kmcnt 0x0
	s_and_b32 s2, s2, 0xffff
	s_cmp_eq_u32 s6, 0
	s_cselect_b32 s4, ttmp9, s5
	v_mad_u32 v0, s4, s2, v0
	s_mov_b32 s2, exec_lo
	s_delay_alu instid0(VALU_DEP_1)
	v_cmpx_gt_i32_e64 s3, v0
	s_cbranch_execz .LBB4_2
; %bb.1:
	s_load_b256 s[24:31], s[0:1], 0x20
	v_dual_lshlrev_b32 v100, 3, v0 :: v_dual_mov_b32 v6, v0
	s_load_b256 s[84:91], s[0:1], 0x0
	s_mov_b64 s[2:3], 0xbf847ae147ae147b
	s_delay_alu instid0(VALU_DEP_1) | instskip(SKIP_2) | instid1(VALU_DEP_1)
	v_ashrrev_i32_e32 v101, 31, v100
	scratch_store_b32 off, v6, off          ; 4-byte Folded Spill
	v_lshlrev_b64_e32 v[4:5], 3, v[100:101]
	v_mov_b64_e32 v[14:15], v[4:5]
	s_wait_kmcnt 0x0
	v_add_nc_u64_e32 v[0:1], s[24:25], v[4:5]
	v_add_nc_u64_e32 v[108:109], s[26:27], v[4:5]
	s_load_b256 s[20:27], s[0:1], 0x60
	v_add_nc_u64_e32 v[2:3], s[90:91], v[4:5]
	s_delay_alu instid0(VALU_DEP_4)
	v_add_nc_u64_e32 v[12:13], s[86:87], v[14:15]
	v_mov_b64_e32 v[48:49], v[14:15]
	global_load_b128 v[20:23], v[0:1], off
	global_load_b128 v[24:27], v[2:3], off
	global_load_b64 v[16:17], v6, s[28:29] scale_offset
	global_load_b128 v[44:47], v[0:1], off offset:16
	global_load_b128 v[40:43], v[2:3], off offset:16
	;; [unrolled: 1-line block ×3, first 2 shown]
	global_load_b128 v[36:39], v[108:109], off
	global_load_b128 v[32:35], v[2:3], off offset:32
	global_load_b128 v[4:7], v[0:1], off offset:48
	;; [unrolled: 1-line block ×4, first 2 shown]
	s_clause 0x3
	global_load_b128 v[110:113], v[12:13], off
	global_load_b128 v[0:3], v[12:13], off offset:16
	global_load_b128 v[96:99], v[12:13], off offset:32
	;; [unrolled: 1-line block ×3, first 2 shown]
	s_wait_kmcnt 0x0
	s_clause 0x3
	s_load_b512 s[4:19], s[22:23], 0x0
	s_load_b512 s[68:83], s[22:23], 0x40
	;; [unrolled: 1-line block ×4, first 2 shown]
	s_wait_loadcnt 0xd
	s_wait_kmcnt 0x0
	v_mul_f64_e32 v[78:79], s[6:7], v[26:27]
	v_mul_f64_e32 v[80:81], s[6:7], v[22:23]
	v_mul_f64_e32 v[62:63], s[70:71], v[22:23]
	v_mul_f64_e32 v[54:55], s[38:39], v[22:23]
	v_mul_f64_e32 v[84:85], s[54:55], v[22:23]
	s_wait_loadcnt 0xc
	v_frexp_exp_i32_f64_e32 v22, v[16:17]
	v_mul_f64_e32 v[76:77], s[70:71], v[26:27]
	v_mul_f64_e32 v[74:75], s[38:39], v[26:27]
	;; [unrolled: 1-line block ×3, first 2 shown]
	s_wait_loadcnt 0x8
	v_mul_f64_e32 v[66:67], s[6:7], v[38:39]
	v_mul_f64_e32 v[64:65], s[70:71], v[38:39]
	;; [unrolled: 1-line block ×4, first 2 shown]
	v_fmac_f64_e32 v[78:79], s[4:5], v[24:25]
	v_fmac_f64_e32 v[80:81], s[4:5], v[20:21]
	;; [unrolled: 1-line block ×5, first 2 shown]
	v_cvt_f32_i32_e32 v20, v22
	v_fmac_f64_e32 v[76:77], s[68:69], v[24:25]
	v_fmac_f64_e32 v[74:75], s[36:37], v[24:25]
	;; [unrolled: 1-line block ×4, first 2 shown]
	v_mul_f32_e32 v20, 0x3eaaaaab, v20
	v_fmac_f64_e32 v[64:65], s[68:69], v[36:37]
	v_fmac_f64_e32 v[60:61], s[36:37], v[36:37]
	;; [unrolled: 1-line block ×3, first 2 shown]
	s_delay_alu instid0(VALU_DEP_4) | instskip(NEXT) | instid1(VALU_DEP_1)
	v_rndne_f32_e32 v20, v20
	v_cvt_i32_f32_e32 v18, v20
	s_delay_alu instid0(VALU_DEP_1)
	v_mul_lo_u32 v20, v18, -3
	v_fmac_f64_e32 v[78:79], s[8:9], v[40:41]
	v_fmac_f64_e32 v[80:81], s[8:9], v[44:45]
	;; [unrolled: 1-line block ×5, first 2 shown]
	v_ldexp_f64 v[86:87], |v[16:17]|, v20
	v_fmac_f64_e32 v[76:77], s[72:73], v[40:41]
	v_fmac_f64_e32 v[74:75], s[40:41], v[40:41]
	;; [unrolled: 1-line block ×3, first 2 shown]
	s_wait_loadcnt 0x5
	v_fmac_f64_e32 v[66:67], s[8:9], v[8:9]
	v_fmac_f64_e32 v[64:65], s[72:73], v[8:9]
	;; [unrolled: 1-line block ×9, first 2 shown]
	v_cvt_f32_f64_e32 v20, v[86:87]
	v_fmac_f64_e32 v[76:77], s[74:75], v[42:43]
	v_fmac_f64_e32 v[74:75], s[42:43], v[42:43]
	;; [unrolled: 1-line block ×12, first 2 shown]
	v_log_f32_e32 v20, v20
	v_fmac_f64_e32 v[76:77], s[76:77], v[32:33]
	v_fmac_f64_e32 v[74:75], s[44:45], v[32:33]
	;; [unrolled: 1-line block ×3, first 2 shown]
	s_delay_alu instid0(TRANS32_DEP_1) | instskip(NEXT) | instid1(VALU_DEP_1)
	v_mul_f32_e32 v20, 0x3eaaaaab, v20
	v_exp_f32_e32 v20, v20
	v_nop
	s_delay_alu instid0(TRANS32_DEP_1)
	v_cvt_f64_f32_e32 v[22:23], v20
	scratch_store_b32 off, v18, off offset:4 ; 4-byte Folded Spill
	s_wait_xcnt 0x0
	v_mov_b64_e32 v[18:19], v[16:17]
	v_mov_b64_e32 v[16:17], v[48:49]
	v_fmac_f64_e32 v[78:79], s[14:15], v[34:35]
	v_fmac_f64_e32 v[80:81], s[14:15], v[30:31]
	;; [unrolled: 1-line block ×5, first 2 shown]
	v_add_nc_u64_e32 v[20:21], s[84:85], v[16:17]
	v_fmac_f64_e32 v[76:77], s[78:79], v[34:35]
	v_fmac_f64_e32 v[74:75], s[46:47], v[34:35]
	v_fmac_f64_e32 v[72:73], s[62:63], v[34:35]
	scratch_store_b64 off, v[16:17], off offset:8 ; 8-byte Folded Spill
	s_clause 0x1
	global_load_b128 v[32:35], v[20:21], off
	global_load_b128 v[40:43], v[20:21], off offset:16
	v_add_f64_e32 v[8:9], v[22:23], v[22:23]
	scratch_store_b64 off, v[22:23], off offset:88 ; 8-byte Folded Spill
	s_clause 0x1
	global_load_b128 v[28:31], v[20:21], off offset:48
	global_load_b128 v[36:39], v[20:21], off offset:32
	s_wait_loadcnt 0x8
	v_fmac_f64_e32 v[78:79], s[16:17], v[50:51]
	v_fmac_f64_e32 v[80:81], s[16:17], v[4:5]
	;; [unrolled: 1-line block ×5, first 2 shown]
	v_mul_f64_e32 v[4:5], v[22:23], v[22:23]
	v_fmac_f64_e32 v[76:77], s[80:81], v[50:51]
	v_fmac_f64_e32 v[74:75], s[48:49], v[50:51]
	v_fmac_f64_e32 v[72:73], s[64:65], v[50:51]
	v_fmac_f64_e32 v[78:79], s[18:19], v[52:53]
	v_fmac_f64_e32 v[80:81], s[18:19], v[6:7]
	v_fmac_f64_e32 v[62:63], s[82:83], v[6:7]
	v_fmac_f64_e32 v[54:55], s[50:51], v[6:7]
	v_fmac_f64_e32 v[84:85], s[66:67], v[6:7]
	v_fma_f64 v[50:51], -v[22:23], v[4:5], v[86:87]
	v_fmac_f64_e32 v[86:87], v[8:9], v[4:5]
	v_fmac_f64_e32 v[76:77], s[82:83], v[52:53]
	;; [unrolled: 1-line block ×4, first 2 shown]
	s_wait_loadcnt 0x6
	v_mul_f64_e32 v[90:91], v[80:81], v[2:3]
	v_mul_f64_e32 v[122:123], v[62:63], v[2:3]
	;; [unrolled: 1-line block ×4, first 2 shown]
	global_load_b128 v[2:5], v[108:109], off offset:32
	v_mul_f64_e32 v[104:105], v[80:81], v[112:113]
	v_mul_f64_e32 v[88:89], v[80:81], v[0:1]
	;; [unrolled: 1-line block ×7, first 2 shown]
	s_wait_loadcnt 0x6
	v_mul_f64_e32 v[120:121], v[54:55], v[96:97]
	v_mul_f64_e32 v[116:117], v[54:55], v[98:99]
	s_wait_loadcnt 0x5
	s_wait_xcnt 0x1
	v_mul_f64_e32 v[20:21], v[54:55], v[12:13]
	v_mul_f64_e32 v[8:9], v[54:55], v[14:15]
	;; [unrolled: 1-line block ×9, first 2 shown]
	v_div_scale_f64 v[84:85], null, v[18:19], v[18:19], 1.0
	v_mul_f64_e32 v[6:7], v[80:81], v[14:15]
	v_mul_f64_e32 v[102:103], v[80:81], v[110:111]
	;; [unrolled: 1-line block ×7, first 2 shown]
	global_load_b128 v[96:99], v[108:109], off offset:48
	v_mul_f64_e32 v[68:69], v[62:63], v[110:111]
	v_mul_f64_e32 v[82:83], v[62:63], v[12:13]
	;; [unrolled: 1-line block ×3, first 2 shown]
	s_wait_loadcnt 0x5
	v_fmac_f64_e32 v[104:105], v[78:79], v[34:35]
	v_fmac_f64_e32 v[70:71], v[76:77], v[34:35]
	;; [unrolled: 1-line block ×4, first 2 shown]
	v_rcp_f64_e32 v[34:35], v[84:85]
	v_fmac_f64_e32 v[102:103], v[78:79], v[32:33]
	s_wait_loadcnt 0x4
	v_fmac_f64_e32 v[88:89], v[78:79], v[40:41]
	v_fmac_f64_e32 v[90:91], v[78:79], v[42:43]
	v_fmac_f64_e32 v[68:69], v[76:77], v[32:33]
	v_fmac_f64_e32 v[52:53], v[76:77], v[40:41]
	v_fmac_f64_e32 v[122:123], v[76:77], v[42:43]
	v_fmac_f64_e32 v[24:25], v[72:73], v[32:33]
	v_fmac_f64_e32 v[48:49], v[74:75], v[40:41]
	s_wait_loadcnt 0x3
	v_fmac_f64_e32 v[6:7], v[78:79], v[30:31]
	s_wait_loadcnt 0x2
	v_fmac_f64_e32 v[92:93], v[78:79], v[36:37]
	v_fmac_f64_e32 v[94:95], v[78:79], v[38:39]
	v_fmac_f64_e32 v[10:11], v[78:79], v[28:29]
	v_fmac_f64_e32 v[8:9], v[74:75], v[30:31]
	v_fmac_f64_e32 v[118:119], v[76:77], v[36:37]
	v_fmac_f64_e32 v[114:115], v[76:77], v[38:39]
	v_fmac_f64_e32 v[82:83], v[76:77], v[28:29]
	v_fmac_f64_e32 v[80:81], v[76:77], v[30:31]
	v_add_nc_u64_e32 v[76:77], s[88:89], v[16:17]
	v_fmac_f64_e32 v[0:1], v[72:73], v[30:31]
	v_fmac_f64_e32 v[120:121], v[74:75], v[36:37]
	;; [unrolled: 1-line block ×3, first 2 shown]
	v_lshl_add_u64 v[36:37], v[100:101], 2, s[20:21]
	v_fmac_f64_e32 v[124:125], v[74:75], v[42:43]
	v_fmac_f64_e32 v[46:47], v[72:73], v[40:41]
	;; [unrolled: 1-line block ×4, first 2 shown]
	s_clause 0x1
	global_load_b128 v[40:43], v[76:77], off
	global_load_b128 v[12:15], v[76:77], off offset:16
	v_fmac_f64_e32 v[106:107], v[72:73], v[28:29]
	v_fmac_f64_e32 v[44:45], v[74:75], v[32:33]
	v_rcp_f64_e32 v[32:33], v[86:87]
	v_fmac_f64_e32 v[20:21], v[74:75], v[28:29]
	v_fmac_f64_e32 v[116:117], v[74:75], v[38:39]
	s_load_b256 s[84:91], s[0:1], 0x40
	v_mov_b64_e32 v[28:29], v[18:19]
	s_load_b128 s[20:23], s[0:1], 0x80
	v_mov_b64_e32 v[78:79], v[6:7]
	v_fma_f64 v[6:7], -v[84:85], v[34:35], 1.0
	scratch_store_b64 off, v[28:29], off offset:80 ; 8-byte Folded Spill
	v_mov_b64_e32 v[108:109], v[10:11]
	v_mov_b64_e32 v[16:17], v[8:9]
	global_load_b128 v[8:11], v[76:77], off offset:32
	v_mov_b64_e32 v[72:73], v[0:1]
	v_mov_b64_e32 v[62:63], v[20:21]
	v_fma_f64 v[38:39], -v[86:87], v[32:33], 1.0
	v_fmac_f64_e32 v[34:35], v[34:35], v[6:7]
	s_wait_loadcnt 0x4
	v_fmac_f64_e32 v[66:67], s[12:13], v[2:3]
	v_fmac_f64_e32 v[64:65], s[76:77], v[2:3]
	;; [unrolled: 1-line block ×4, first 2 shown]
	global_load_b128 v[0:3], v[36:37], off
	v_fmac_f64_e32 v[32:33], v[38:39], v[32:33]
	v_fma_f64 v[38:39], -v[84:85], v[34:35], 1.0
	v_fmac_f64_e32 v[66:67], s[14:15], v[4:5]
	v_fmac_f64_e32 v[64:65], s[78:79], v[4:5]
	;; [unrolled: 1-line block ×4, first 2 shown]
	global_load_b128 v[4:7], v[76:77], off offset:48
	v_fma_f64 v[30:31], -v[86:87], v[32:33], 1.0
	v_fmac_f64_e32 v[34:35], v[34:35], v[38:39]
	s_wait_loadcnt 0x5
	v_fmac_f64_e32 v[66:67], s[16:17], v[96:97]
	v_fmac_f64_e32 v[64:65], s[80:81], v[96:97]
	;; [unrolled: 1-line block ×9, first 2 shown]
	s_wait_kmcnt 0x0
	v_mul_f64_e64 v[98:99], s[22:23], s[2:3]
	s_wait_loadcnt 0x4
	v_fmac_f64_e32 v[104:105], v[66:67], v[42:43]
	s_wait_loadcnt 0x3
	v_fmac_f64_e32 v[90:91], v[66:67], v[14:15]
	v_fmac_f64_e32 v[122:123], v[64:65], v[14:15]
	;; [unrolled: 1-line block ×11, first 2 shown]
	v_div_scale_f64 v[40:41], vcc_lo, 1.0, v[28:29], 1.0
	v_fmac_f64_e32 v[88:89], v[66:67], v[12:13]
	v_fmac_f64_e32 v[52:53], v[64:65], v[12:13]
	;; [unrolled: 1-line block ×4, first 2 shown]
	s_wait_loadcnt 0x2
	v_fmac_f64_e32 v[94:95], v[66:67], v[10:11]
	v_fmac_f64_e32 v[114:115], v[64:65], v[10:11]
	;; [unrolled: 1-line block ×8, first 2 shown]
	v_mul_f64_e32 v[12:13], v[40:41], v[34:35]
	s_wait_loadcnt 0x1
	s_clause 0x3
	global_load_b64 v[38:39], v0, s[30:31] scale_offset
	global_load_b64 v[74:75], v1, s[30:31] scale_offset
	;; [unrolled: 1-line block ×4, first 2 shown]
	s_clause 0x2
	global_load_b64 v[18:19], v0, s[84:85] scale_offset
	global_load_b64 v[14:15], v1, s[84:85] scale_offset
	;; [unrolled: 1-line block ×3, first 2 shown]
	v_fma_f64 v[30:31], -v[84:85], v[12:13], v[40:41]
	s_wait_loadcnt 0x7
	v_fmac_f64_e32 v[108:109], v[66:67], v[4:5]
	v_fmac_f64_e32 v[78:79], v[66:67], v[6:7]
	;; [unrolled: 1-line block ×7, first 2 shown]
	v_mul_f64_e32 v[58:59], v[50:51], v[32:33]
	v_fmac_f64_e32 v[80:81], v[64:65], v[6:7]
	v_div_fmas_f64 v[12:13], v[30:31], v[34:35], v[12:13]
	s_clause 0x4
	scratch_store_b64 off, v[78:79], off offset:24
	scratch_store_b64 off, v[62:63], off offset:56
	;; [unrolled: 1-line block ×5, first 2 shown]
	global_load_b64 v[78:79], v3, s[84:85] scale_offset
	s_clause 0x3
	global_load_b64 v[16:17], v0, s[86:87] scale_offset
	global_load_b64 v[10:11], v1, s[86:87] scale_offset
	;; [unrolled: 1-line block ×4, first 2 shown]
	scratch_load_b32 v4, off, off           ; 4-byte Folded Reload
	global_load_b128 v[0:3], v[36:37], off offset:16
	s_wait_xcnt 0x0
	v_fma_f64 v[36:37], -v[86:87], v[58:59], v[50:51]
	v_div_fixup_f64 v[108:109], v[12:13], v[28:29], 1.0
	s_delay_alu instid0(VALU_DEP_2) | instskip(NEXT) | instid1(VALU_DEP_2)
	v_fmac_f64_e32 v[58:59], v[36:37], v[32:33]
	v_fma_f64 v[60:61], -v[108:109], v[104:105], s[6:7]
	v_fma_f64 v[84:85], -v[108:109], v[70:71], s[70:71]
	;; [unrolled: 1-line block ×6, first 2 shown]
	s_wait_loadcnt 0xc
	v_mul_f64_e32 v[68:69], v[74:75], v[60:61]
	v_mul_f64_e32 v[102:103], v[74:75], v[84:85]
	;; [unrolled: 1-line block ×3, first 2 shown]
	s_wait_loadcnt 0x8
	v_mul_f64_e32 v[66:67], v[14:15], v[60:61]
	v_mul_f64_e32 v[104:105], v[14:15], v[84:85]
	;; [unrolled: 1-line block ×3, first 2 shown]
	v_fmac_f64_e32 v[68:69], v[38:39], v[64:65]
	v_fmac_f64_e32 v[102:103], v[38:39], v[86:87]
	;; [unrolled: 1-line block ×6, first 2 shown]
	s_wait_loadcnt 0x4
	v_mul_f64_e32 v[12:13], v[10:11], v[28:29]
	s_wait_loadcnt 0x1
	global_load_b64 v[40:41], v4, s[88:89] scale_offset
	s_wait_loadcnt 0x1
	s_clause 0x1
	global_load_b64 v[4:5], v0, s[30:31] scale_offset
	global_load_b64 v[50:51], v0, s[84:85] scale_offset
	v_fmac_f64_e32 v[12:13], v[16:17], v[26:27]
	s_wait_loadcnt 0x2
	v_mul_f64_e32 v[6:7], v[98:99], v[40:41]
	v_mul_f64_e32 v[40:41], v[10:11], v[60:61]
	scratch_store_b64 off, v[6:7], off offset:64 ; 8-byte Folded Spill
	global_load_b64 v[6:7], v0, s[86:87] scale_offset
	s_clause 0x2
	global_load_b64 v[8:9], v1, s[30:31] scale_offset
	global_load_b64 v[62:63], v2, s[30:31] scale_offset
	;; [unrolled: 1-line block ×3, first 2 shown]
	s_clause 0x2
	global_load_b64 v[110:111], v1, s[84:85] scale_offset
	global_load_b64 v[98:99], v2, s[84:85] scale_offset
	;; [unrolled: 1-line block ×3, first 2 shown]
	v_fmac_f64_e32 v[40:41], v[16:17], v[64:65]
	s_wait_loadcnt 0x0
	scratch_store_b64 off, v[30:31], off offset:72 ; 8-byte Folded Spill
	s_clause 0x2
	global_load_b64 v[112:113], v1, s[86:87] scale_offset
	global_load_b64 v[100:101], v2, s[86:87] scale_offset
	;; [unrolled: 1-line block ×3, first 2 shown]
	v_fma_f64 v[0:1], -v[108:109], v[22:23], s[54:55]
	v_fma_f64 v[30:31], -v[108:109], v[24:25], s[52:53]
	;; [unrolled: 1-line block ×3, first 2 shown]
	scratch_load_b64 v[46:47], off, off offset:88 th:TH_LOAD_LU ; 8-byte Folded Reload
	v_fma_f64 v[22:23], -v[108:109], v[56:57], s[62:63]
	scratch_store_b64 off, v[0:1], off offset:16 ; 8-byte Folded Spill
	v_mul_f64_e32 v[70:71], v[74:75], v[0:1]
	v_mul_f64_e32 v[14:15], v[14:15], v[0:1]
	;; [unrolled: 1-line block ×3, first 2 shown]
	s_wait_xcnt 0x0
	v_mul_f64_e32 v[0:1], v[10:11], v[0:1]
	v_fma_f64 v[10:11], -v[108:109], v[88:89], s[8:9]
	v_fma_f64 v[88:89], -v[108:109], v[52:53], s[72:73]
	;; [unrolled: 1-line block ×3, first 2 shown]
	v_fmac_f64_e32 v[70:71], v[38:39], v[30:31]
	v_fmac_f64_e32 v[14:15], v[18:19], v[30:31]
	;; [unrolled: 1-line block ×4, first 2 shown]
	v_fma_f64 v[38:39], -v[108:109], v[48:49], s[40:41]
	v_fmac_f64_e32 v[68:69], v[20:21], v[10:11]
	v_fmac_f64_e32 v[102:103], v[20:21], v[88:89]
	;; [unrolled: 1-line block ×5, first 2 shown]
	v_fma_f64 v[18:19], -v[108:109], v[82:83], s[80:81]
	v_fma_f64 v[16:17], -v[108:109], v[80:81], s[82:83]
	v_fmac_f64_e32 v[70:71], v[20:21], v[24:25]
	v_fmac_f64_e32 v[14:15], v[42:43], v[24:25]
	;; [unrolled: 1-line block ×7, first 2 shown]
	v_fma_f64 v[72:73], -v[108:109], v[90:91], s[10:11]
	v_fma_f64 v[90:91], -v[108:109], v[122:123], s[74:75]
	;; [unrolled: 1-line block ×5, first 2 shown]
	v_fmac_f64_e32 v[68:69], v[76:77], v[72:73]
	v_fmac_f64_e32 v[102:103], v[76:77], v[90:91]
	;; [unrolled: 1-line block ×4, first 2 shown]
	v_fma_f64 v[76:77], -v[108:109], v[92:93], s[12:13]
	v_fma_f64 v[92:93], -v[108:109], v[118:119], s[76:77]
	v_fmac_f64_e32 v[40:41], v[96:97], v[72:73]
	v_fmac_f64_e32 v[74:75], v[96:97], v[90:91]
	;; [unrolled: 1-line block ×8, first 2 shown]
	v_fma_f64 v[78:79], -v[108:109], v[94:95], s[14:15]
	v_fma_f64 v[94:95], -v[108:109], v[114:115], s[78:79]
	v_fma_f64 v[114:115], -v[108:109], v[106:107], s[64:65]
	v_fmac_f64_e32 v[34:35], v[4:5], v[52:53]
	v_fmac_f64_e32 v[70:71], v[4:5], v[126:127]
	;; [unrolled: 1-line block ×4, first 2 shown]
	scratch_load_b32 v4, off, off th:TH_LOAD_LU ; 4-byte Folded Reload
	v_fmac_f64_e32 v[40:41], v[6:7], v[76:77]
	v_fmac_f64_e32 v[74:75], v[6:7], v[92:93]
	;; [unrolled: 1-line block ×4, first 2 shown]
	scratch_load_b64 v[6:7], off, off offset:80 th:TH_LOAD_LU ; 8-byte Folded Reload
	v_fmac_f64_e32 v[104:105], v[50:51], v[92:93]
	v_fmac_f64_e32 v[66:67], v[50:51], v[76:77]
	;; [unrolled: 1-line block ×13, first 2 shown]
	s_delay_alu instid0(VALU_DEP_4) | instskip(NEXT) | instid1(VALU_DEP_3)
	v_fmac_f64_e32 v[14:15], v[98:99], v[114:115]
	v_fmac_f64_e32 v[102:103], v[32:33], v[16:17]
	s_delay_alu instid0(VALU_DEP_1)
	v_mul_f64_e32 v[48:49], v[84:85], v[102:103]
	v_mul_f64_e32 v[50:51], v[88:89], v[102:103]
	;; [unrolled: 1-line block ×6, first 2 shown]
	s_wait_loadcnt 0x5
	v_fmac_f64_e32 v[74:75], v[112:113], v[94:95]
	v_fmac_f64_e32 v[40:41], v[112:113], v[78:79]
	;; [unrolled: 1-line block ×3, first 2 shown]
	s_wait_loadcnt 0x2
	v_fmac_f64_e32 v[46:47], v[46:47], v[58:59]
	v_fma_f64 v[58:59], -v[108:109], v[116:117], s[46:47]
	v_fmac_f64_e32 v[74:75], v[100:101], v[18:19]
	s_delay_alu instid0(VALU_DEP_4) | instskip(NEXT) | instid1(VALU_DEP_3)
	v_fmac_f64_e32 v[0:1], v[100:101], v[114:115]
	v_fmac_f64_e32 v[34:35], v[8:9], v[58:59]
	scratch_load_b64 v[8:9], off, off offset:48 th:TH_LOAD_LU ; 8-byte Folded Reload
	v_fmac_f64_e32 v[12:13], v[112:113], v[58:59]
	v_fmac_f64_e32 v[36:37], v[110:111], v[58:59]
	;; [unrolled: 1-line block ×3, first 2 shown]
	s_wait_loadcnt 0x2
	global_load_b64 v[44:45], v4, s[90:91] scale_offset
	scratch_load_b32 v4, off, off offset:4 th:TH_LOAD_LU ; 4-byte Folded Reload
	s_wait_loadcnt 0x2
	v_fma_f64 v[124:125], -v[108:109], v[8:9], s[16:17]
	scratch_load_b64 v[8:9], off, off offset:56 th:TH_LOAD_LU ; 8-byte Folded Reload
	v_fmac_f64_e32 v[68:69], v[62:63], v[124:125]
	v_fmac_f64_e32 v[66:67], v[98:99], v[124:125]
	;; [unrolled: 1-line block ×3, first 2 shown]
	s_wait_loadcnt 0x1
	v_ldexp_f64 v[4:5], v[46:47], v4
	scratch_load_b64 v[46:47], off, off offset:64 th:TH_LOAD_LU ; 8-byte Folded Reload
	s_wait_loadcnt 0x1
	v_fma_f64 v[120:121], -v[108:109], v[8:9], s[48:49]
	scratch_load_b64 v[8:9], off, off offset:72 th:TH_LOAD_LU ; 8-byte Folded Reload
	v_fmac_f64_e32 v[34:35], v[62:63], v[120:121]
	v_mul_f64_e32 v[62:63], v[94:95], v[102:103]
	v_fmac_f64_e32 v[36:37], v[98:99], v[120:121]
	v_fmac_f64_e32 v[12:13], v[100:101], v[120:121]
	s_wait_loadcnt 0x1
	v_mul_f64_e32 v[112:113], v[46:47], v[44:45]
	scratch_load_b64 v[44:45], off, off offset:24 th:TH_LOAD_LU ; 8-byte Folded Reload
	v_mul_f64_e32 v[46:47], v[86:87], v[102:103]
	s_wait_loadcnt 0x1
	v_fmac_f64_e32 v[104:105], v[8:9], v[16:17]
	s_delay_alu instid0(VALU_DEP_1)
	v_mul_f64_e32 v[96:97], v[86:87], v[104:105]
	v_mul_f64_e32 v[98:99], v[84:85], v[104:105]
	;; [unrolled: 1-line block ×12, first 2 shown]
	s_wait_loadcnt 0x0
	v_fma_f64 v[122:123], -v[108:109], v[44:45], s[18:19]
	scratch_load_b64 v[44:45], off, off offset:32 th:TH_LOAD_LU ; 8-byte Folded Reload
	v_cmp_class_f64_e64 vcc_lo, v[6:7], 0x198
	v_bfi_b32 v5, 0x7fffffff, v5, v7
	v_fmac_f64_e32 v[68:69], v[32:33], v[122:123]
	s_delay_alu instid0(VALU_DEP_2) | instskip(NEXT) | instid1(VALU_DEP_1)
	v_dual_cndmask_b32 v118, v6, v4 :: v_dual_cndmask_b32 v119, v7, v5
	v_div_scale_f64 v[4:5], null, v[118:119], v[118:119], v[112:113]
	s_delay_alu instid0(VALU_DEP_3)
	v_fmac_f64_e32 v[46:47], v[64:65], v[68:69]
	v_fmac_f64_e32 v[48:49], v[60:61], v[68:69]
	;; [unrolled: 1-line block ×8, first 2 shown]
	v_rcp_f64_e32 v[6:7], v[4:5]
	v_mov_b64_e32 v[68:69], v[8:9]
	s_delay_alu instid0(VALU_DEP_1) | instskip(NEXT) | instid1(TRANS32_DEP_1)
	v_fmac_f64_e32 v[66:67], v[68:69], v[122:123]
	v_fma_f64 v[8:9], -v[4:5], v[6:7], 1.0
	s_delay_alu instid0(VALU_DEP_2)
	v_fmac_f64_e32 v[96:97], v[64:65], v[66:67]
	v_fmac_f64_e32 v[98:99], v[60:61], v[66:67]
	;; [unrolled: 1-line block ×7, first 2 shown]
	s_wait_loadcnt 0x0
	v_fma_f64 v[116:117], -v[108:109], v[44:45], s[50:51]
	scratch_load_b64 v[44:45], off, off offset:40 th:TH_LOAD_LU ; 8-byte Folded Reload
	v_fmac_f64_e32 v[34:35], v[32:33], v[116:117]
	v_fmac_f64_e32 v[36:37], v[68:69], v[116:117]
	s_delay_alu instid0(VALU_DEP_2) | instskip(NEXT) | instid1(VALU_DEP_2)
	v_fmac_f64_e32 v[56:57], v[52:53], v[34:35]
	v_fmac_f64_e32 v[106:107], v[52:53], v[36:37]
	;; [unrolled: 1-line block ×14, first 2 shown]
	s_wait_loadcnt 0x0
	v_fma_f64 v[44:45], -v[108:109], v[44:45], s[66:67]
	v_mul_f64_e32 v[108:109], v[94:95], v[104:105]
	v_mul_f64_e32 v[104:105], v[16:17], v[104:105]
	;; [unrolled: 1-line block ×4, first 2 shown]
	v_fmac_f64_e32 v[70:71], v[32:33], v[44:45]
	v_fmac_f64_e32 v[108:109], v[78:79], v[66:67]
	;; [unrolled: 1-line block ×3, first 2 shown]
	v_mov_b64_e32 v[66:67], v[2:3]
	v_fma_f64 v[2:3], -v[4:5], v[6:7], 1.0
	v_fmac_f64_e32 v[14:15], v[68:69], v[44:45]
	s_delay_alu instid0(VALU_DEP_3)
	v_fmac_f64_e32 v[40:41], v[66:67], v[122:123]
	v_fmac_f64_e32 v[12:13], v[66:67], v[116:117]
	v_fmac_f64_e32 v[0:1], v[66:67], v[44:45]
	v_fmac_f64_e32 v[46:47], v[30:31], v[70:71]
	v_fmac_f64_e32 v[108:109], v[58:59], v[36:37]
	v_fmac_f64_e32 v[104:105], v[116:117], v[36:37]
	v_fmac_f64_e32 v[50:51], v[24:25], v[70:71]
	v_fmac_f64_e32 v[6:7], v[6:7], v[2:3]
	v_div_scale_f64 v[2:3], vcc_lo, v[112:113], v[118:119], v[112:113]
	v_fmac_f64_e32 v[54:55], v[20:21], v[70:71]
	v_fmac_f64_e32 v[56:57], v[126:127], v[70:71]
	;; [unrolled: 1-line block ×20, first 2 shown]
	v_mul_f64_e32 v[8:9], v[2:3], v[6:7]
	v_fmac_f64_e32 v[92:93], v[52:53], v[12:13]
	v_fmac_f64_e32 v[86:87], v[26:27], v[12:13]
	;; [unrolled: 1-line block ×8, first 2 shown]
	v_fma_f64 v[2:3], -v[4:5], v[8:9], v[2:3]
	v_fmac_f64_e32 v[92:93], v[126:127], v[0:1]
	v_fmac_f64_e32 v[86:87], v[30:31], v[0:1]
	;; [unrolled: 1-line block ×7, first 2 shown]
	v_div_fmas_f64 v[2:3], v[2:3], v[6:7], v[8:9]
	s_delay_alu instid0(VALU_DEP_1)
	v_div_fixup_f64 v[52:53], v[2:3], v[118:119], v[112:113]
	scratch_load_b64 v[2:3], off, off offset:16 th:TH_LOAD_LU ; 8-byte Folded Reload
	v_mul_f64_e32 v[4:5], v[52:53], v[50:51]
	v_mul_f64_e32 v[6:7], v[52:53], v[54:55]
	;; [unrolled: 1-line block ×17, first 2 shown]
	s_wait_loadcnt 0x0
	v_fmac_f64_e32 v[48:49], v[2:3], v[70:71]
	v_fmac_f64_e32 v[98:99], v[2:3], v[14:15]
	;; [unrolled: 1-line block ×3, first 2 shown]
	v_mul_f64_e32 v[0:1], v[52:53], v[46:47]
	v_mul_f64_e32 v[14:15], v[52:53], v[82:83]
	;; [unrolled: 1-line block ×7, first 2 shown]
	scratch_load_b64 v[52:53], off, off offset:8 th:TH_LOAD_LU ; 8-byte Folded Reload
	s_wait_loadcnt 0x0
	v_add_nc_u64_e32 v[16:17], s[24:25], v[52:53]
	v_add_nc_u64_e32 v[18:19], s[26:27], v[52:53]
	;; [unrolled: 1-line block ×3, first 2 shown]
	s_clause 0x3
	global_store_b128 v[16:17], v[0:3], off
	global_store_b128 v[16:17], v[4:7], off offset:16
	global_store_b128 v[16:17], v[8:11], off offset:32
	global_store_b128 v[16:17], v[12:15], off offset:48
	s_clause 0x3
	global_store_b128 v[18:19], v[20:23], off
	global_store_b128 v[18:19], v[24:27], off offset:16
	global_store_b128 v[18:19], v[28:31], off offset:32
	global_store_b128 v[18:19], v[32:35], off offset:48
	;; [unrolled: 5-line block ×3, first 2 shown]
.LBB4_2:
	s_sendmsg sendmsg(MSG_DEALLOC_VGPRS)
	s_endpgm
	.section	.rodata,"a",@progbits
	.p2align	6, 0x0
	.amdhsa_kernel _Z2fbPKdS0_S0_S0_S0_S0_S0_S0_S0_S0_S0_S0_PKiS0_PdS3_S3_di
		.amdhsa_group_segment_fixed_size 0
		.amdhsa_private_segment_fixed_size 100
		.amdhsa_kernarg_size 408
		.amdhsa_user_sgpr_count 2
		.amdhsa_user_sgpr_dispatch_ptr 0
		.amdhsa_user_sgpr_queue_ptr 0
		.amdhsa_user_sgpr_kernarg_segment_ptr 1
		.amdhsa_user_sgpr_dispatch_id 0
		.amdhsa_user_sgpr_kernarg_preload_length 0
		.amdhsa_user_sgpr_kernarg_preload_offset 0
		.amdhsa_user_sgpr_private_segment_size 0
		.amdhsa_wavefront_size32 1
		.amdhsa_uses_dynamic_stack 0
		.amdhsa_enable_private_segment 1
		.amdhsa_system_sgpr_workgroup_id_x 1
		.amdhsa_system_sgpr_workgroup_id_y 0
		.amdhsa_system_sgpr_workgroup_id_z 0
		.amdhsa_system_sgpr_workgroup_info 0
		.amdhsa_system_vgpr_workitem_id 0
		.amdhsa_next_free_vgpr 128
		.amdhsa_next_free_sgpr 92
		.amdhsa_named_barrier_count 0
		.amdhsa_reserve_vcc 1
		.amdhsa_float_round_mode_32 0
		.amdhsa_float_round_mode_16_64 0
		.amdhsa_float_denorm_mode_32 3
		.amdhsa_float_denorm_mode_16_64 3
		.amdhsa_fp16_overflow 0
		.amdhsa_memory_ordered 1
		.amdhsa_forward_progress 1
		.amdhsa_inst_pref_size 31
		.amdhsa_round_robin_scheduling 0
		.amdhsa_exception_fp_ieee_invalid_op 0
		.amdhsa_exception_fp_denorm_src 0
		.amdhsa_exception_fp_ieee_div_zero 0
		.amdhsa_exception_fp_ieee_overflow 0
		.amdhsa_exception_fp_ieee_underflow 0
		.amdhsa_exception_fp_ieee_inexact 0
		.amdhsa_exception_int_div_zero 0
	.end_amdhsa_kernel
	.text
.Lfunc_end4:
	.size	_Z2fbPKdS0_S0_S0_S0_S0_S0_S0_S0_S0_S0_S0_PKiS0_PdS3_S3_di, .Lfunc_end4-_Z2fbPKdS0_S0_S0_S0_S0_S0_S0_S0_S0_S0_S0_PKiS0_PdS3_S3_di
                                        ; -- End function
	.set _Z2fbPKdS0_S0_S0_S0_S0_S0_S0_S0_S0_S0_S0_PKiS0_PdS3_S3_di.num_vgpr, 128
	.set _Z2fbPKdS0_S0_S0_S0_S0_S0_S0_S0_S0_S0_S0_PKiS0_PdS3_S3_di.num_agpr, 0
	.set _Z2fbPKdS0_S0_S0_S0_S0_S0_S0_S0_S0_S0_S0_PKiS0_PdS3_S3_di.numbered_sgpr, 92
	.set _Z2fbPKdS0_S0_S0_S0_S0_S0_S0_S0_S0_S0_S0_PKiS0_PdS3_S3_di.num_named_barrier, 0
	.set _Z2fbPKdS0_S0_S0_S0_S0_S0_S0_S0_S0_S0_S0_PKiS0_PdS3_S3_di.private_seg_size, 100
	.set _Z2fbPKdS0_S0_S0_S0_S0_S0_S0_S0_S0_S0_S0_PKiS0_PdS3_S3_di.uses_vcc, 1
	.set _Z2fbPKdS0_S0_S0_S0_S0_S0_S0_S0_S0_S0_S0_PKiS0_PdS3_S3_di.uses_flat_scratch, 1
	.set _Z2fbPKdS0_S0_S0_S0_S0_S0_S0_S0_S0_S0_S0_PKiS0_PdS3_S3_di.has_dyn_sized_stack, 0
	.set _Z2fbPKdS0_S0_S0_S0_S0_S0_S0_S0_S0_S0_S0_PKiS0_PdS3_S3_di.has_recursion, 0
	.set _Z2fbPKdS0_S0_S0_S0_S0_S0_S0_S0_S0_S0_S0_PKiS0_PdS3_S3_di.has_indirect_call, 0
	.section	.AMDGPU.csdata,"",@progbits
; Kernel info:
; codeLenInByte = 3956
; TotalNumSgprs: 94
; NumVgprs: 128
; ScratchSize: 100
; MemoryBound: 0
; FloatMode: 240
; IeeeMode: 1
; LDSByteSize: 0 bytes/workgroup (compile time only)
; SGPRBlocks: 0
; VGPRBlocks: 7
; NumSGPRsForWavesPerEU: 94
; NumVGPRsForWavesPerEU: 128
; NamedBarCnt: 0
; Occupancy: 8
; WaveLimiterHint : 0
; COMPUTE_PGM_RSRC2:SCRATCH_EN: 1
; COMPUTE_PGM_RSRC2:USER_SGPR: 2
; COMPUTE_PGM_RSRC2:TRAP_HANDLER: 0
; COMPUTE_PGM_RSRC2:TGID_X_EN: 1
; COMPUTE_PGM_RSRC2:TGID_Y_EN: 0
; COMPUTE_PGM_RSRC2:TGID_Z_EN: 0
; COMPUTE_PGM_RSRC2:TIDIG_COMP_CNT: 0
	.text
	.protected	_Z19collect_final_forcePKdS0_S0_PdS1_S1_PKiS3_i ; -- Begin function _Z19collect_final_forcePKdS0_S0_PdS1_S1_PKiS3_i
	.globl	_Z19collect_final_forcePKdS0_S0_PdS1_S1_PKiS3_i
	.p2align	8
	.type	_Z19collect_final_forcePKdS0_S0_PdS1_S1_PKiS3_i,@function
_Z19collect_final_forcePKdS0_S0_PdS1_S1_PKiS3_i: ; @_Z19collect_final_forcePKdS0_S0_PdS1_S1_PKiS3_i
; %bb.0:
	s_clause 0x1
	s_load_b32 s2, s[0:1], 0x54
	s_load_b32 s3, s[0:1], 0x40
	s_bfe_u32 s4, ttmp6, 0x4000c
	s_and_b32 s5, ttmp6, 15
	s_add_co_i32 s4, s4, 1
	s_getreg_b32 s6, hwreg(HW_REG_IB_STS2, 6, 4)
	s_mul_i32 s4, ttmp9, s4
	s_delay_alu instid0(SALU_CYCLE_1) | instskip(SKIP_4) | instid1(SALU_CYCLE_1)
	s_add_co_i32 s5, s5, s4
	s_wait_kmcnt 0x0
	s_and_b32 s2, s2, 0xffff
	s_cmp_eq_u32 s6, 0
	s_cselect_b32 s4, ttmp9, s5
	v_mad_u32 v0, s4, s2, v0
	s_mov_b32 s2, exec_lo
	s_delay_alu instid0(VALU_DEP_1)
	v_cmpx_gt_i32_e64 s3, v0
	s_cbranch_execz .LBB5_6
; %bb.1:
	s_load_b64 s[2:3], s[0:1], 0x30
	v_ashrrev_i32_e32 v1, 31, v0
	v_mov_b64_e32 v[4:5], 0
	v_mov_b64_e32 v[6:7], 0
	s_mov_b32 s8, exec_lo
	s_wait_kmcnt 0x0
	v_lshl_add_u64 v[2:3], v[0:1], 2, s[2:3]
	global_load_b64 v[8:9], v[2:3], off
	s_wait_xcnt 0x0
	v_mov_b64_e32 v[2:3], 0
	s_wait_loadcnt 0x0
	v_sub_nc_u32_e32 v10, v9, v8
	s_delay_alu instid0(VALU_DEP_1)
	v_cmpx_lt_i32_e32 0, v10
	s_cbranch_execz .LBB5_5
; %bb.2:
	s_clause 0x2
	s_load_b64 s[10:11], s[0:1], 0x38
	s_load_b128 s[4:7], s[0:1], 0x0
	s_load_b64 s[2:3], s[0:1], 0x10
	v_ashrrev_i32_e32 v9, 31, v8
	v_mov_b64_e32 v[2:3], 0
	v_mov_b64_e32 v[4:5], 0
	;; [unrolled: 1-line block ×3, first 2 shown]
	s_mov_b32 s9, 0
	s_wait_kmcnt 0x0
	v_lshl_add_u64 v[8:9], v[8:9], 2, s[10:11]
	s_mov_b32 s10, 0
.LBB5_3:                                ; =>This Inner Loop Header: Depth=1
	global_load_b32 v11, v[8:9], off
	s_add_co_i32 s10, s10, 1
	s_wait_xcnt 0x0
	v_add_nc_u64_e32 v[8:9], 4, v[8:9]
	v_cmp_ge_i32_e32 vcc_lo, s10, v10
	s_wait_loadcnt 0x0
	s_clause 0x2
	global_load_b64 v[12:13], v11, s[4:5] scale_offset
	global_load_b64 v[14:15], v11, s[6:7] scale_offset
	;; [unrolled: 1-line block ×3, first 2 shown]
	s_or_b32 s9, vcc_lo, s9
	s_wait_loadcnt 0x2
	v_add_f64_e32 v[6:7], v[6:7], v[12:13]
	s_wait_loadcnt 0x1
	v_add_f64_e32 v[4:5], v[4:5], v[14:15]
	;; [unrolled: 2-line block ×3, first 2 shown]
	s_and_not1_b32 exec_lo, exec_lo, s9
	s_cbranch_execnz .LBB5_3
; %bb.4:
	s_or_b32 exec_lo, exec_lo, s9
.LBB5_5:
	s_delay_alu instid0(SALU_CYCLE_1)
	s_or_b32 exec_lo, exec_lo, s8
	s_clause 0x1
	s_load_b128 s[4:7], s[0:1], 0x18
	s_load_b64 s[2:3], s[0:1], 0x28
	v_lshlrev_b64_e32 v[0:1], 3, v[0:1]
	s_wait_kmcnt 0x0
	s_delay_alu instid0(VALU_DEP_1)
	v_add_nc_u64_e32 v[8:9], s[4:5], v[0:1]
	v_add_nc_u64_e32 v[10:11], s[6:7], v[0:1]
	;; [unrolled: 1-line block ×3, first 2 shown]
	global_store_b64 v[8:9], v[6:7], off
	global_store_b64 v[10:11], v[4:5], off
	global_store_b64 v[0:1], v[2:3], off
.LBB5_6:
	s_endpgm
	.section	.rodata,"a",@progbits
	.p2align	6, 0x0
	.amdhsa_kernel _Z19collect_final_forcePKdS0_S0_PdS1_S1_PKiS3_i
		.amdhsa_group_segment_fixed_size 0
		.amdhsa_private_segment_fixed_size 0
		.amdhsa_kernarg_size 328
		.amdhsa_user_sgpr_count 2
		.amdhsa_user_sgpr_dispatch_ptr 0
		.amdhsa_user_sgpr_queue_ptr 0
		.amdhsa_user_sgpr_kernarg_segment_ptr 1
		.amdhsa_user_sgpr_dispatch_id 0
		.amdhsa_user_sgpr_kernarg_preload_length 0
		.amdhsa_user_sgpr_kernarg_preload_offset 0
		.amdhsa_user_sgpr_private_segment_size 0
		.amdhsa_wavefront_size32 1
		.amdhsa_uses_dynamic_stack 0
		.amdhsa_enable_private_segment 0
		.amdhsa_system_sgpr_workgroup_id_x 1
		.amdhsa_system_sgpr_workgroup_id_y 0
		.amdhsa_system_sgpr_workgroup_id_z 0
		.amdhsa_system_sgpr_workgroup_info 0
		.amdhsa_system_vgpr_workitem_id 0
		.amdhsa_next_free_vgpr 18
		.amdhsa_next_free_sgpr 12
		.amdhsa_named_barrier_count 0
		.amdhsa_reserve_vcc 1
		.amdhsa_float_round_mode_32 0
		.amdhsa_float_round_mode_16_64 0
		.amdhsa_float_denorm_mode_32 3
		.amdhsa_float_denorm_mode_16_64 3
		.amdhsa_fp16_overflow 0
		.amdhsa_memory_ordered 1
		.amdhsa_forward_progress 1
		.amdhsa_inst_pref_size 4
		.amdhsa_round_robin_scheduling 0
		.amdhsa_exception_fp_ieee_invalid_op 0
		.amdhsa_exception_fp_denorm_src 0
		.amdhsa_exception_fp_ieee_div_zero 0
		.amdhsa_exception_fp_ieee_overflow 0
		.amdhsa_exception_fp_ieee_underflow 0
		.amdhsa_exception_fp_ieee_inexact 0
		.amdhsa_exception_int_div_zero 0
	.end_amdhsa_kernel
	.text
.Lfunc_end5:
	.size	_Z19collect_final_forcePKdS0_S0_PdS1_S1_PKiS3_i, .Lfunc_end5-_Z19collect_final_forcePKdS0_S0_PdS1_S1_PKiS3_i
                                        ; -- End function
	.set _Z19collect_final_forcePKdS0_S0_PdS1_S1_PKiS3_i.num_vgpr, 18
	.set _Z19collect_final_forcePKdS0_S0_PdS1_S1_PKiS3_i.num_agpr, 0
	.set _Z19collect_final_forcePKdS0_S0_PdS1_S1_PKiS3_i.numbered_sgpr, 12
	.set _Z19collect_final_forcePKdS0_S0_PdS1_S1_PKiS3_i.num_named_barrier, 0
	.set _Z19collect_final_forcePKdS0_S0_PdS1_S1_PKiS3_i.private_seg_size, 0
	.set _Z19collect_final_forcePKdS0_S0_PdS1_S1_PKiS3_i.uses_vcc, 1
	.set _Z19collect_final_forcePKdS0_S0_PdS1_S1_PKiS3_i.uses_flat_scratch, 0
	.set _Z19collect_final_forcePKdS0_S0_PdS1_S1_PKiS3_i.has_dyn_sized_stack, 0
	.set _Z19collect_final_forcePKdS0_S0_PdS1_S1_PKiS3_i.has_recursion, 0
	.set _Z19collect_final_forcePKdS0_S0_PdS1_S1_PKiS3_i.has_indirect_call, 0
	.section	.AMDGPU.csdata,"",@progbits
; Kernel info:
; codeLenInByte = 444
; TotalNumSgprs: 14
; NumVgprs: 18
; ScratchSize: 0
; MemoryBound: 0
; FloatMode: 240
; IeeeMode: 1
; LDSByteSize: 0 bytes/workgroup (compile time only)
; SGPRBlocks: 0
; VGPRBlocks: 1
; NumSGPRsForWavesPerEU: 14
; NumVGPRsForWavesPerEU: 18
; NamedBarCnt: 0
; Occupancy: 16
; WaveLimiterHint : 1
; COMPUTE_PGM_RSRC2:SCRATCH_EN: 0
; COMPUTE_PGM_RSRC2:USER_SGPR: 2
; COMPUTE_PGM_RSRC2:TRAP_HANDLER: 0
; COMPUTE_PGM_RSRC2:TGID_X_EN: 1
; COMPUTE_PGM_RSRC2:TGID_Y_EN: 0
; COMPUTE_PGM_RSRC2:TGID_Z_EN: 0
; COMPUTE_PGM_RSRC2:TIDIG_COMP_CNT: 0
	.text
	.protected	_Z19accelerationForNodePKdS0_S0_S0_PdS1_S1_i ; -- Begin function _Z19accelerationForNodePKdS0_S0_S0_PdS1_S1_i
	.globl	_Z19accelerationForNodePKdS0_S0_S0_PdS1_S1_i
	.p2align	8
	.type	_Z19accelerationForNodePKdS0_S0_S0_PdS1_S1_i,@function
_Z19accelerationForNodePKdS0_S0_S0_PdS1_S1_i: ; @_Z19accelerationForNodePKdS0_S0_S0_PdS1_S1_i
; %bb.0:
	s_clause 0x1
	s_load_b32 s2, s[0:1], 0x4c
	s_load_b32 s3, s[0:1], 0x38
	s_bfe_u32 s4, ttmp6, 0x4000c
	s_and_b32 s5, ttmp6, 15
	s_add_co_i32 s4, s4, 1
	s_getreg_b32 s6, hwreg(HW_REG_IB_STS2, 6, 4)
	s_mul_i32 s4, ttmp9, s4
	s_delay_alu instid0(SALU_CYCLE_1) | instskip(SKIP_4) | instid1(SALU_CYCLE_1)
	s_add_co_i32 s5, s5, s4
	s_wait_kmcnt 0x0
	s_and_b32 s2, s2, 0xffff
	s_cmp_eq_u32 s6, 0
	s_cselect_b32 s4, ttmp9, s5
	v_mad_u32 v0, s4, s2, v0
	s_mov_b32 s2, exec_lo
	s_delay_alu instid0(VALU_DEP_1)
	v_cmpx_gt_i32_e64 s3, v0
	s_cbranch_execz .LBB6_2
; %bb.1:
	s_load_b256 s[4:11], s[0:1], 0x0
	s_wait_kmcnt 0x0
	s_clause 0x3
	global_load_b64 v[2:3], v0, s[10:11] scale_offset
	global_load_b64 v[4:5], v0, s[4:5] scale_offset
	;; [unrolled: 1-line block ×4, first 2 shown]
	s_wait_xcnt 0x1
	s_clause 0x1
	s_load_b128 s[4:7], s[0:1], 0x20
	s_load_b64 s[2:3], s[0:1], 0x30
	s_wait_loadcnt 0x3
	v_div_scale_f64 v[10:11], null, v[2:3], v[2:3], 1.0
	v_div_scale_f64 v[16:17], vcc_lo, 1.0, v[2:3], 1.0
	s_delay_alu instid0(VALU_DEP_2) | instskip(SKIP_1) | instid1(TRANS32_DEP_1)
	v_rcp_f64_e32 v[12:13], v[10:11]
	v_nop
	v_fma_f64 v[14:15], -v[10:11], v[12:13], 1.0
	s_delay_alu instid0(VALU_DEP_1) | instskip(NEXT) | instid1(VALU_DEP_1)
	v_fmac_f64_e32 v[12:13], v[12:13], v[14:15]
	v_fma_f64 v[14:15], -v[10:11], v[12:13], 1.0
	s_delay_alu instid0(VALU_DEP_1) | instskip(NEXT) | instid1(VALU_DEP_1)
	v_fmac_f64_e32 v[12:13], v[12:13], v[14:15]
	v_mul_f64_e32 v[14:15], v[16:17], v[12:13]
	s_delay_alu instid0(VALU_DEP_1) | instskip(NEXT) | instid1(VALU_DEP_1)
	v_fma_f64 v[10:11], -v[10:11], v[14:15], v[16:17]
	v_div_fmas_f64 v[10:11], v[10:11], v[12:13], v[14:15]
	s_delay_alu instid0(VALU_DEP_1) | instskip(SKIP_1) | instid1(VALU_DEP_1)
	v_div_fixup_f64 v[2:3], v[10:11], v[2:3], 1.0
	s_wait_loadcnt 0x2
	v_mul_f64_e32 v[4:5], v[4:5], v[2:3]
	s_wait_loadcnt 0x1
	v_mul_f64_e32 v[6:7], v[2:3], v[6:7]
	s_wait_loadcnt 0x0
	v_mul_f64_e32 v[2:3], v[2:3], v[8:9]
	s_wait_kmcnt 0x0
	s_clause 0x2
	global_store_b64 v0, v[4:5], s[4:5] scale_offset
	global_store_b64 v0, v[6:7], s[6:7] scale_offset
	;; [unrolled: 1-line block ×3, first 2 shown]
.LBB6_2:
	s_endpgm
	.section	.rodata,"a",@progbits
	.p2align	6, 0x0
	.amdhsa_kernel _Z19accelerationForNodePKdS0_S0_S0_PdS1_S1_i
		.amdhsa_group_segment_fixed_size 0
		.amdhsa_private_segment_fixed_size 0
		.amdhsa_kernarg_size 320
		.amdhsa_user_sgpr_count 2
		.amdhsa_user_sgpr_dispatch_ptr 0
		.amdhsa_user_sgpr_queue_ptr 0
		.amdhsa_user_sgpr_kernarg_segment_ptr 1
		.amdhsa_user_sgpr_dispatch_id 0
		.amdhsa_user_sgpr_kernarg_preload_length 0
		.amdhsa_user_sgpr_kernarg_preload_offset 0
		.amdhsa_user_sgpr_private_segment_size 0
		.amdhsa_wavefront_size32 1
		.amdhsa_uses_dynamic_stack 0
		.amdhsa_enable_private_segment 0
		.amdhsa_system_sgpr_workgroup_id_x 1
		.amdhsa_system_sgpr_workgroup_id_y 0
		.amdhsa_system_sgpr_workgroup_id_z 0
		.amdhsa_system_sgpr_workgroup_info 0
		.amdhsa_system_vgpr_workitem_id 0
		.amdhsa_next_free_vgpr 18
		.amdhsa_next_free_sgpr 12
		.amdhsa_named_barrier_count 0
		.amdhsa_reserve_vcc 1
		.amdhsa_float_round_mode_32 0
		.amdhsa_float_round_mode_16_64 0
		.amdhsa_float_denorm_mode_32 3
		.amdhsa_float_denorm_mode_16_64 3
		.amdhsa_fp16_overflow 0
		.amdhsa_memory_ordered 1
		.amdhsa_forward_progress 1
		.amdhsa_inst_pref_size 3
		.amdhsa_round_robin_scheduling 0
		.amdhsa_exception_fp_ieee_invalid_op 0
		.amdhsa_exception_fp_denorm_src 0
		.amdhsa_exception_fp_ieee_div_zero 0
		.amdhsa_exception_fp_ieee_overflow 0
		.amdhsa_exception_fp_ieee_underflow 0
		.amdhsa_exception_fp_ieee_inexact 0
		.amdhsa_exception_int_div_zero 0
	.end_amdhsa_kernel
	.text
.Lfunc_end6:
	.size	_Z19accelerationForNodePKdS0_S0_S0_PdS1_S1_i, .Lfunc_end6-_Z19accelerationForNodePKdS0_S0_S0_PdS1_S1_i
                                        ; -- End function
	.set _Z19accelerationForNodePKdS0_S0_S0_PdS1_S1_i.num_vgpr, 18
	.set _Z19accelerationForNodePKdS0_S0_S0_PdS1_S1_i.num_agpr, 0
	.set _Z19accelerationForNodePKdS0_S0_S0_PdS1_S1_i.numbered_sgpr, 12
	.set _Z19accelerationForNodePKdS0_S0_S0_PdS1_S1_i.num_named_barrier, 0
	.set _Z19accelerationForNodePKdS0_S0_S0_PdS1_S1_i.private_seg_size, 0
	.set _Z19accelerationForNodePKdS0_S0_S0_PdS1_S1_i.uses_vcc, 1
	.set _Z19accelerationForNodePKdS0_S0_S0_PdS1_S1_i.uses_flat_scratch, 0
	.set _Z19accelerationForNodePKdS0_S0_S0_PdS1_S1_i.has_dyn_sized_stack, 0
	.set _Z19accelerationForNodePKdS0_S0_S0_PdS1_S1_i.has_recursion, 0
	.set _Z19accelerationForNodePKdS0_S0_S0_PdS1_S1_i.has_indirect_call, 0
	.section	.AMDGPU.csdata,"",@progbits
; Kernel info:
; codeLenInByte = 360
; TotalNumSgprs: 14
; NumVgprs: 18
; ScratchSize: 0
; MemoryBound: 0
; FloatMode: 240
; IeeeMode: 1
; LDSByteSize: 0 bytes/workgroup (compile time only)
; SGPRBlocks: 0
; VGPRBlocks: 1
; NumSGPRsForWavesPerEU: 14
; NumVGPRsForWavesPerEU: 18
; NamedBarCnt: 0
; Occupancy: 16
; WaveLimiterHint : 0
; COMPUTE_PGM_RSRC2:SCRATCH_EN: 0
; COMPUTE_PGM_RSRC2:USER_SGPR: 2
; COMPUTE_PGM_RSRC2:TRAP_HANDLER: 0
; COMPUTE_PGM_RSRC2:TGID_X_EN: 1
; COMPUTE_PGM_RSRC2:TGID_Y_EN: 0
; COMPUTE_PGM_RSRC2:TGID_Z_EN: 0
; COMPUTE_PGM_RSRC2:TIDIG_COMP_CNT: 0
	.text
	.protected	_Z43applyAccelerationBoundaryConditionsForNodesPKiS0_S0_PdS1_S1_iiii ; -- Begin function _Z43applyAccelerationBoundaryConditionsForNodesPKiS0_S0_PdS1_S1_iiii
	.globl	_Z43applyAccelerationBoundaryConditionsForNodesPKiS0_S0_PdS1_S1_iiii
	.p2align	8
	.type	_Z43applyAccelerationBoundaryConditionsForNodesPKiS0_S0_PdS1_S1_iiii,@function
_Z43applyAccelerationBoundaryConditionsForNodesPKiS0_S0_PdS1_S1_iiii: ; @_Z43applyAccelerationBoundaryConditionsForNodesPKiS0_S0_PdS1_S1_iiii
; %bb.0:
	s_clause 0x1
	s_load_b32 s2, s[0:1], 0x4c
	s_load_b128 s[4:7], s[0:1], 0x30
	s_bfe_u32 s3, ttmp6, 0x4000c
	s_and_b32 s8, ttmp6, 15
	s_add_co_i32 s3, s3, 1
	s_getreg_b32 s9, hwreg(HW_REG_IB_STS2, 6, 4)
	s_mul_i32 s3, ttmp9, s3
	s_delay_alu instid0(SALU_CYCLE_1) | instskip(SKIP_4) | instid1(SALU_CYCLE_1)
	s_add_co_i32 s8, s8, s3
	s_wait_kmcnt 0x0
	s_and_b32 s2, s2, 0xffff
	s_cmp_eq_u32 s9, 0
	s_cselect_b32 s3, ttmp9, s8
	v_mad_u32 v0, s3, s2, v0
	s_mov_b32 s2, exec_lo
	s_delay_alu instid0(VALU_DEP_1)
	v_cmpx_gt_i32_e64 s7, v0
	s_cbranch_execz .LBB7_4
; %bb.1:
	s_cmp_lg_u32 s4, 0
	s_cbranch_scc0 .LBB7_5
; %bb.2:
	s_cmp_lg_u32 s5, 0
	s_cbranch_scc0 .LBB7_6
.LBB7_3:
	s_cmp_lg_u32 s6, 0
	s_cbranch_scc0 .LBB7_7
.LBB7_4:
	s_endpgm
.LBB7_5:
	s_clause 0x1
	s_load_b64 s[2:3], s[0:1], 0x0
	s_load_b64 s[8:9], s[0:1], 0x18
	v_mov_b64_e32 v[2:3], 0
	s_wait_kmcnt 0x0
	global_load_b32 v1, v0, s[2:3] scale_offset
	s_wait_loadcnt 0x0
	global_store_b64 v1, v[2:3], s[8:9] scale_offset
	s_cmp_lg_u32 s5, 0
	s_cbranch_scc1 .LBB7_3
.LBB7_6:
	s_clause 0x1
	s_load_b64 s[2:3], s[0:1], 0x8
	s_load_b64 s[4:5], s[0:1], 0x20
	v_mov_b64_e32 v[2:3], 0
	s_wait_kmcnt 0x0
	global_load_b32 v1, v0, s[2:3] scale_offset
	s_wait_loadcnt 0x0
	global_store_b64 v1, v[2:3], s[4:5] scale_offset
	s_cmp_lg_u32 s6, 0
	s_cbranch_scc1 .LBB7_4
.LBB7_7:
	s_wait_xcnt 0x1
	s_clause 0x1
	s_load_b64 s[2:3], s[0:1], 0x10
	s_load_b64 s[4:5], s[0:1], 0x28
	s_wait_kmcnt 0x0
	global_load_b32 v2, v0, s[2:3] scale_offset
	s_wait_xcnt 0x0
	v_mov_b64_e32 v[0:1], 0
	s_wait_loadcnt 0x0
	global_store_b64 v2, v[0:1], s[4:5] scale_offset
	s_endpgm
	.section	.rodata,"a",@progbits
	.p2align	6, 0x0
	.amdhsa_kernel _Z43applyAccelerationBoundaryConditionsForNodesPKiS0_S0_PdS1_S1_iiii
		.amdhsa_group_segment_fixed_size 0
		.amdhsa_private_segment_fixed_size 0
		.amdhsa_kernarg_size 320
		.amdhsa_user_sgpr_count 2
		.amdhsa_user_sgpr_dispatch_ptr 0
		.amdhsa_user_sgpr_queue_ptr 0
		.amdhsa_user_sgpr_kernarg_segment_ptr 1
		.amdhsa_user_sgpr_dispatch_id 0
		.amdhsa_user_sgpr_kernarg_preload_length 0
		.amdhsa_user_sgpr_kernarg_preload_offset 0
		.amdhsa_user_sgpr_private_segment_size 0
		.amdhsa_wavefront_size32 1
		.amdhsa_uses_dynamic_stack 0
		.amdhsa_enable_private_segment 0
		.amdhsa_system_sgpr_workgroup_id_x 1
		.amdhsa_system_sgpr_workgroup_id_y 0
		.amdhsa_system_sgpr_workgroup_id_z 0
		.amdhsa_system_sgpr_workgroup_info 0
		.amdhsa_system_vgpr_workitem_id 0
		.amdhsa_next_free_vgpr 4
		.amdhsa_next_free_sgpr 10
		.amdhsa_named_barrier_count 0
		.amdhsa_reserve_vcc 0
		.amdhsa_float_round_mode_32 0
		.amdhsa_float_round_mode_16_64 0
		.amdhsa_float_denorm_mode_32 3
		.amdhsa_float_denorm_mode_16_64 3
		.amdhsa_fp16_overflow 0
		.amdhsa_memory_ordered 1
		.amdhsa_forward_progress 1
		.amdhsa_inst_pref_size 3
		.amdhsa_round_robin_scheduling 0
		.amdhsa_exception_fp_ieee_invalid_op 0
		.amdhsa_exception_fp_denorm_src 0
		.amdhsa_exception_fp_ieee_div_zero 0
		.amdhsa_exception_fp_ieee_overflow 0
		.amdhsa_exception_fp_ieee_underflow 0
		.amdhsa_exception_fp_ieee_inexact 0
		.amdhsa_exception_int_div_zero 0
	.end_amdhsa_kernel
	.text
.Lfunc_end7:
	.size	_Z43applyAccelerationBoundaryConditionsForNodesPKiS0_S0_PdS1_S1_iiii, .Lfunc_end7-_Z43applyAccelerationBoundaryConditionsForNodesPKiS0_S0_PdS1_S1_iiii
                                        ; -- End function
	.set _Z43applyAccelerationBoundaryConditionsForNodesPKiS0_S0_PdS1_S1_iiii.num_vgpr, 4
	.set _Z43applyAccelerationBoundaryConditionsForNodesPKiS0_S0_PdS1_S1_iiii.num_agpr, 0
	.set _Z43applyAccelerationBoundaryConditionsForNodesPKiS0_S0_PdS1_S1_iiii.numbered_sgpr, 10
	.set _Z43applyAccelerationBoundaryConditionsForNodesPKiS0_S0_PdS1_S1_iiii.num_named_barrier, 0
	.set _Z43applyAccelerationBoundaryConditionsForNodesPKiS0_S0_PdS1_S1_iiii.private_seg_size, 0
	.set _Z43applyAccelerationBoundaryConditionsForNodesPKiS0_S0_PdS1_S1_iiii.uses_vcc, 0
	.set _Z43applyAccelerationBoundaryConditionsForNodesPKiS0_S0_PdS1_S1_iiii.uses_flat_scratch, 0
	.set _Z43applyAccelerationBoundaryConditionsForNodesPKiS0_S0_PdS1_S1_iiii.has_dyn_sized_stack, 0
	.set _Z43applyAccelerationBoundaryConditionsForNodesPKiS0_S0_PdS1_S1_iiii.has_recursion, 0
	.set _Z43applyAccelerationBoundaryConditionsForNodesPKiS0_S0_PdS1_S1_iiii.has_indirect_call, 0
	.section	.AMDGPU.csdata,"",@progbits
; Kernel info:
; codeLenInByte = 324
; TotalNumSgprs: 10
; NumVgprs: 4
; ScratchSize: 0
; MemoryBound: 0
; FloatMode: 240
; IeeeMode: 1
; LDSByteSize: 0 bytes/workgroup (compile time only)
; SGPRBlocks: 0
; VGPRBlocks: 0
; NumSGPRsForWavesPerEU: 10
; NumVGPRsForWavesPerEU: 4
; NamedBarCnt: 0
; Occupancy: 16
; WaveLimiterHint : 1
; COMPUTE_PGM_RSRC2:SCRATCH_EN: 0
; COMPUTE_PGM_RSRC2:USER_SGPR: 2
; COMPUTE_PGM_RSRC2:TRAP_HANDLER: 0
; COMPUTE_PGM_RSRC2:TGID_X_EN: 1
; COMPUTE_PGM_RSRC2:TGID_Y_EN: 0
; COMPUTE_PGM_RSRC2:TGID_Z_EN: 0
; COMPUTE_PGM_RSRC2:TIDIG_COMP_CNT: 0
	.text
	.protected	_Z20calcVelocityForNodesPdS_S_PKdS1_S1_ddi ; -- Begin function _Z20calcVelocityForNodesPdS_S_PKdS1_S1_ddi
	.globl	_Z20calcVelocityForNodesPdS_S_PKdS1_S1_ddi
	.p2align	8
	.type	_Z20calcVelocityForNodesPdS_S_PKdS1_S1_ddi,@function
_Z20calcVelocityForNodesPdS_S_PKdS1_S1_ddi: ; @_Z20calcVelocityForNodesPdS_S_PKdS1_S1_ddi
; %bb.0:
	s_clause 0x1
	s_load_b32 s2, s[0:1], 0x54
	s_load_b32 s3, s[0:1], 0x40
	s_bfe_u32 s4, ttmp6, 0x4000c
	s_and_b32 s5, ttmp6, 15
	s_add_co_i32 s4, s4, 1
	s_getreg_b32 s6, hwreg(HW_REG_IB_STS2, 6, 4)
	s_mul_i32 s4, ttmp9, s4
	s_delay_alu instid0(SALU_CYCLE_1) | instskip(SKIP_4) | instid1(SALU_CYCLE_1)
	s_add_co_i32 s5, s5, s4
	s_wait_kmcnt 0x0
	s_and_b32 s2, s2, 0xffff
	s_cmp_eq_u32 s6, 0
	s_cselect_b32 s4, ttmp9, s5
	v_mad_u32 v0, s4, s2, v0
	s_mov_b32 s2, exec_lo
	s_delay_alu instid0(VALU_DEP_1)
	v_cmpx_gt_i32_e64 s3, v0
	s_cbranch_execz .LBB8_2
; %bb.1:
	s_clause 0x1
	s_load_b256 s[4:11], s[0:1], 0x0
	s_load_b256 s[12:19], s[0:1], 0x20
	s_wait_kmcnt 0x0
	s_clause 0x5
	global_load_b64 v[2:3], v0, s[6:7] scale_offset
	global_load_b64 v[4:5], v0, s[8:9] scale_offset
	;; [unrolled: 1-line block ×6, first 2 shown]
	s_wait_loadcnt 0x2
	v_fmac_f64_e32 v[6:7], s[16:17], v[8:9]
	s_wait_loadcnt 0x1
	v_fmac_f64_e32 v[2:3], s[16:17], v[10:11]
	;; [unrolled: 2-line block ×3, first 2 shown]
	s_delay_alu instid0(VALU_DEP_3) | instskip(NEXT) | instid1(VALU_DEP_3)
	v_cmp_nlt_f64_e64 vcc_lo, |v[6:7]|, s[18:19]
	v_cmp_nlt_f64_e64 s0, |v[2:3]|, s[18:19]
	s_delay_alu instid0(VALU_DEP_3) | instskip(SKIP_1) | instid1(VALU_DEP_3)
	v_cmp_nlt_f64_e64 s1, |v[4:5]|, s[18:19]
	v_cndmask_b32_e32 v7, 0, v7, vcc_lo
	v_dual_cndmask_b32 v3, 0, v3, s0 :: v_dual_cndmask_b32 v6, 0, v6, vcc_lo
	s_delay_alu instid0(VALU_DEP_3)
	v_dual_cndmask_b32 v2, 0, v2, s0 :: v_dual_cndmask_b32 v4, 0, v4, s1
	v_cndmask_b32_e64 v5, 0, v5, s1
	s_clause 0x2
	global_store_b64 v0, v[6:7], s[4:5] scale_offset
	global_store_b64 v0, v[2:3], s[6:7] scale_offset
	;; [unrolled: 1-line block ×3, first 2 shown]
.LBB8_2:
	s_endpgm
	.section	.rodata,"a",@progbits
	.p2align	6, 0x0
	.amdhsa_kernel _Z20calcVelocityForNodesPdS_S_PKdS1_S1_ddi
		.amdhsa_group_segment_fixed_size 0
		.amdhsa_private_segment_fixed_size 0
		.amdhsa_kernarg_size 328
		.amdhsa_user_sgpr_count 2
		.amdhsa_user_sgpr_dispatch_ptr 0
		.amdhsa_user_sgpr_queue_ptr 0
		.amdhsa_user_sgpr_kernarg_segment_ptr 1
		.amdhsa_user_sgpr_dispatch_id 0
		.amdhsa_user_sgpr_kernarg_preload_length 0
		.amdhsa_user_sgpr_kernarg_preload_offset 0
		.amdhsa_user_sgpr_private_segment_size 0
		.amdhsa_wavefront_size32 1
		.amdhsa_uses_dynamic_stack 0
		.amdhsa_enable_private_segment 0
		.amdhsa_system_sgpr_workgroup_id_x 1
		.amdhsa_system_sgpr_workgroup_id_y 0
		.amdhsa_system_sgpr_workgroup_id_z 0
		.amdhsa_system_sgpr_workgroup_info 0
		.amdhsa_system_vgpr_workitem_id 0
		.amdhsa_next_free_vgpr 14
		.amdhsa_next_free_sgpr 20
		.amdhsa_named_barrier_count 0
		.amdhsa_reserve_vcc 1
		.amdhsa_float_round_mode_32 0
		.amdhsa_float_round_mode_16_64 0
		.amdhsa_float_denorm_mode_32 3
		.amdhsa_float_denorm_mode_16_64 3
		.amdhsa_fp16_overflow 0
		.amdhsa_memory_ordered 1
		.amdhsa_forward_progress 1
		.amdhsa_inst_pref_size 3
		.amdhsa_round_robin_scheduling 0
		.amdhsa_exception_fp_ieee_invalid_op 0
		.amdhsa_exception_fp_denorm_src 0
		.amdhsa_exception_fp_ieee_div_zero 0
		.amdhsa_exception_fp_ieee_overflow 0
		.amdhsa_exception_fp_ieee_underflow 0
		.amdhsa_exception_fp_ieee_inexact 0
		.amdhsa_exception_int_div_zero 0
	.end_amdhsa_kernel
	.text
.Lfunc_end8:
	.size	_Z20calcVelocityForNodesPdS_S_PKdS1_S1_ddi, .Lfunc_end8-_Z20calcVelocityForNodesPdS_S_PKdS1_S1_ddi
                                        ; -- End function
	.set _Z20calcVelocityForNodesPdS_S_PKdS1_S1_ddi.num_vgpr, 14
	.set _Z20calcVelocityForNodesPdS_S_PKdS1_S1_ddi.num_agpr, 0
	.set _Z20calcVelocityForNodesPdS_S_PKdS1_S1_ddi.numbered_sgpr, 20
	.set _Z20calcVelocityForNodesPdS_S_PKdS1_S1_ddi.num_named_barrier, 0
	.set _Z20calcVelocityForNodesPdS_S_PKdS1_S1_ddi.private_seg_size, 0
	.set _Z20calcVelocityForNodesPdS_S_PKdS1_S1_ddi.uses_vcc, 1
	.set _Z20calcVelocityForNodesPdS_S_PKdS1_S1_ddi.uses_flat_scratch, 0
	.set _Z20calcVelocityForNodesPdS_S_PKdS1_S1_ddi.has_dyn_sized_stack, 0
	.set _Z20calcVelocityForNodesPdS_S_PKdS1_S1_ddi.has_recursion, 0
	.set _Z20calcVelocityForNodesPdS_S_PKdS1_S1_ddi.has_indirect_call, 0
	.section	.AMDGPU.csdata,"",@progbits
; Kernel info:
; codeLenInByte = 340
; TotalNumSgprs: 22
; NumVgprs: 14
; ScratchSize: 0
; MemoryBound: 0
; FloatMode: 240
; IeeeMode: 1
; LDSByteSize: 0 bytes/workgroup (compile time only)
; SGPRBlocks: 0
; VGPRBlocks: 0
; NumSGPRsForWavesPerEU: 22
; NumVGPRsForWavesPerEU: 14
; NamedBarCnt: 0
; Occupancy: 16
; WaveLimiterHint : 0
; COMPUTE_PGM_RSRC2:SCRATCH_EN: 0
; COMPUTE_PGM_RSRC2:USER_SGPR: 2
; COMPUTE_PGM_RSRC2:TRAP_HANDLER: 0
; COMPUTE_PGM_RSRC2:TGID_X_EN: 1
; COMPUTE_PGM_RSRC2:TGID_Y_EN: 0
; COMPUTE_PGM_RSRC2:TGID_Z_EN: 0
; COMPUTE_PGM_RSRC2:TIDIG_COMP_CNT: 0
	.text
	.protected	_Z20calcPositionForNodesPdS_S_PKdS1_S1_di ; -- Begin function _Z20calcPositionForNodesPdS_S_PKdS1_S1_di
	.globl	_Z20calcPositionForNodesPdS_S_PKdS1_S1_di
	.p2align	8
	.type	_Z20calcPositionForNodesPdS_S_PKdS1_S1_di,@function
_Z20calcPositionForNodesPdS_S_PKdS1_S1_di: ; @_Z20calcPositionForNodesPdS_S_PKdS1_S1_di
; %bb.0:
	s_clause 0x1
	s_load_b32 s2, s[0:1], 0x4c
	s_load_b32 s3, s[0:1], 0x38
	s_bfe_u32 s4, ttmp6, 0x4000c
	s_and_b32 s5, ttmp6, 15
	s_add_co_i32 s4, s4, 1
	s_getreg_b32 s6, hwreg(HW_REG_IB_STS2, 6, 4)
	s_mul_i32 s4, ttmp9, s4
	s_delay_alu instid0(SALU_CYCLE_1) | instskip(SKIP_4) | instid1(SALU_CYCLE_1)
	s_add_co_i32 s5, s5, s4
	s_wait_kmcnt 0x0
	s_and_b32 s2, s2, 0xffff
	s_cmp_eq_u32 s6, 0
	s_cselect_b32 s4, ttmp9, s5
	v_mad_u32 v0, s4, s2, v0
	s_mov_b32 s2, exec_lo
	s_delay_alu instid0(VALU_DEP_1)
	v_cmpx_gt_i32_e64 s3, v0
	s_cbranch_execz .LBB9_2
; %bb.1:
	s_clause 0x2
	s_load_b256 s[4:11], s[0:1], 0x0
	s_load_b128 s[12:15], s[0:1], 0x20
	s_load_b64 s[2:3], s[0:1], 0x30
	s_wait_kmcnt 0x0
	s_clause 0x5
	global_load_b64 v[2:3], v0, s[10:11] scale_offset
	global_load_b64 v[4:5], v0, s[4:5] scale_offset
	;; [unrolled: 1-line block ×6, first 2 shown]
	s_wait_loadcnt 0x4
	v_fmac_f64_e32 v[4:5], s[2:3], v[2:3]
	s_wait_loadcnt 0x1
	v_fmac_f64_e32 v[10:11], s[2:3], v[6:7]
	;; [unrolled: 2-line block ×3, first 2 shown]
	s_clause 0x2
	global_store_b64 v0, v[4:5], s[4:5] scale_offset
	global_store_b64 v0, v[10:11], s[6:7] scale_offset
	;; [unrolled: 1-line block ×3, first 2 shown]
.LBB9_2:
	s_endpgm
	.section	.rodata,"a",@progbits
	.p2align	6, 0x0
	.amdhsa_kernel _Z20calcPositionForNodesPdS_S_PKdS1_S1_di
		.amdhsa_group_segment_fixed_size 0
		.amdhsa_private_segment_fixed_size 0
		.amdhsa_kernarg_size 320
		.amdhsa_user_sgpr_count 2
		.amdhsa_user_sgpr_dispatch_ptr 0
		.amdhsa_user_sgpr_queue_ptr 0
		.amdhsa_user_sgpr_kernarg_segment_ptr 1
		.amdhsa_user_sgpr_dispatch_id 0
		.amdhsa_user_sgpr_kernarg_preload_length 0
		.amdhsa_user_sgpr_kernarg_preload_offset 0
		.amdhsa_user_sgpr_private_segment_size 0
		.amdhsa_wavefront_size32 1
		.amdhsa_uses_dynamic_stack 0
		.amdhsa_enable_private_segment 0
		.amdhsa_system_sgpr_workgroup_id_x 1
		.amdhsa_system_sgpr_workgroup_id_y 0
		.amdhsa_system_sgpr_workgroup_id_z 0
		.amdhsa_system_sgpr_workgroup_info 0
		.amdhsa_system_vgpr_workitem_id 0
		.amdhsa_next_free_vgpr 14
		.amdhsa_next_free_sgpr 16
		.amdhsa_named_barrier_count 0
		.amdhsa_reserve_vcc 0
		.amdhsa_float_round_mode_32 0
		.amdhsa_float_round_mode_16_64 0
		.amdhsa_float_denorm_mode_32 3
		.amdhsa_float_denorm_mode_16_64 3
		.amdhsa_fp16_overflow 0
		.amdhsa_memory_ordered 1
		.amdhsa_forward_progress 1
		.amdhsa_inst_pref_size 3
		.amdhsa_round_robin_scheduling 0
		.amdhsa_exception_fp_ieee_invalid_op 0
		.amdhsa_exception_fp_denorm_src 0
		.amdhsa_exception_fp_ieee_div_zero 0
		.amdhsa_exception_fp_ieee_overflow 0
		.amdhsa_exception_fp_ieee_underflow 0
		.amdhsa_exception_fp_ieee_inexact 0
		.amdhsa_exception_int_div_zero 0
	.end_amdhsa_kernel
	.text
.Lfunc_end9:
	.size	_Z20calcPositionForNodesPdS_S_PKdS1_S1_di, .Lfunc_end9-_Z20calcPositionForNodesPdS_S_PKdS1_S1_di
                                        ; -- End function
	.set _Z20calcPositionForNodesPdS_S_PKdS1_S1_di.num_vgpr, 14
	.set _Z20calcPositionForNodesPdS_S_PKdS1_S1_di.num_agpr, 0
	.set _Z20calcPositionForNodesPdS_S_PKdS1_S1_di.numbered_sgpr, 16
	.set _Z20calcPositionForNodesPdS_S_PKdS1_S1_di.num_named_barrier, 0
	.set _Z20calcPositionForNodesPdS_S_PKdS1_S1_di.private_seg_size, 0
	.set _Z20calcPositionForNodesPdS_S_PKdS1_S1_di.uses_vcc, 0
	.set _Z20calcPositionForNodesPdS_S_PKdS1_S1_di.uses_flat_scratch, 0
	.set _Z20calcPositionForNodesPdS_S_PKdS1_S1_di.has_dyn_sized_stack, 0
	.set _Z20calcPositionForNodesPdS_S_PKdS1_S1_di.has_recursion, 0
	.set _Z20calcPositionForNodesPdS_S_PKdS1_S1_di.has_indirect_call, 0
	.section	.AMDGPU.csdata,"",@progbits
; Kernel info:
; codeLenInByte = 276
; TotalNumSgprs: 16
; NumVgprs: 14
; ScratchSize: 0
; MemoryBound: 0
; FloatMode: 240
; IeeeMode: 1
; LDSByteSize: 0 bytes/workgroup (compile time only)
; SGPRBlocks: 0
; VGPRBlocks: 0
; NumSGPRsForWavesPerEU: 16
; NumVGPRsForWavesPerEU: 14
; NamedBarCnt: 0
; Occupancy: 16
; WaveLimiterHint : 0
; COMPUTE_PGM_RSRC2:SCRATCH_EN: 0
; COMPUTE_PGM_RSRC2:USER_SGPR: 2
; COMPUTE_PGM_RSRC2:TRAP_HANDLER: 0
; COMPUTE_PGM_RSRC2:TGID_X_EN: 1
; COMPUTE_PGM_RSRC2:TGID_Y_EN: 0
; COMPUTE_PGM_RSRC2:TGID_Z_EN: 0
; COMPUTE_PGM_RSRC2:TIDIG_COMP_CNT: 0
	.text
	.protected	_Z22calcKinematicsForElemsPKdS0_S0_S0_S0_S0_PKiS0_S0_PdS3_S3_S3_S3_S3_di ; -- Begin function _Z22calcKinematicsForElemsPKdS0_S0_S0_S0_S0_PKiS0_S0_PdS3_S3_S3_S3_S3_di
	.globl	_Z22calcKinematicsForElemsPKdS0_S0_S0_S0_S0_PKiS0_S0_PdS3_S3_S3_S3_S3_di
	.p2align	8
	.type	_Z22calcKinematicsForElemsPKdS0_S0_S0_S0_S0_PKiS0_S0_PdS3_S3_S3_S3_S3_di,@function
_Z22calcKinematicsForElemsPKdS0_S0_S0_S0_S0_PKiS0_S0_PdS3_S3_S3_S3_S3_di: ; @_Z22calcKinematicsForElemsPKdS0_S0_S0_S0_S0_PKiS0_S0_PdS3_S3_S3_S3_S3_di
; %bb.0:
	s_clause 0x1
	s_load_b32 s2, s[0:1], 0x94
	s_load_b32 s3, s[0:1], 0x80
	s_bfe_u32 s4, ttmp6, 0x4000c
	s_and_b32 s5, ttmp6, 15
	s_add_co_i32 s4, s4, 1
	s_getreg_b32 s6, hwreg(HW_REG_IB_STS2, 6, 4)
	s_mul_i32 s4, ttmp9, s4
	s_delay_alu instid0(SALU_CYCLE_1) | instskip(SKIP_4) | instid1(SALU_CYCLE_1)
	s_add_co_i32 s5, s5, s4
	s_wait_kmcnt 0x0
	s_and_b32 s2, s2, 0xffff
	s_cmp_eq_u32 s6, 0
	s_cselect_b32 s4, ttmp9, s5
	v_mad_u32 v100, s4, s2, v0
	s_mov_b32 s2, exec_lo
	s_delay_alu instid0(VALU_DEP_1)
	v_cmpx_gt_i32_e64 s3, v100
	s_cbranch_execz .LBB10_2
; %bb.1:
	s_load_b256 s[4:11], s[0:1], 0x20
	v_lshlrev_b32_e32 v0, 3, v100
	s_load_b256 s[12:19], s[0:1], 0x0
	s_delay_alu instid0(VALU_DEP_1) | instskip(SKIP_1) | instid1(VALU_DEP_1)
	v_ashrrev_i32_e32 v1, 31, v0
	s_wait_kmcnt 0x0
	v_lshl_add_u64 v[12:13], v[0:1], 2, s[8:9]
	s_clause 0x3
	global_load_b64 v[60:61], v[12:13], off
	global_load_b128 v[8:11], v[12:13], off
	global_load_b128 v[0:3], v[12:13], off offset:16
	global_load_b128 v[4:7], v[12:13], off offset:8
	s_wait_loadcnt 0x3
	global_load_b64 v[22:23], v61, s[4:5] scale_offset
	s_wait_loadcnt 0x3
	s_clause 0x2
	global_load_b64 v[38:39], v11, s[4:5] scale_offset
	global_load_b64 v[28:29], v10, s[4:5] scale_offset
	;; [unrolled: 1-line block ×3, first 2 shown]
	s_wait_loadcnt 0x5
	s_clause 0x1
	global_load_b64 v[34:35], v3, s[4:5] scale_offset
	global_load_b64 v[44:45], v2, s[4:5] scale_offset
	s_wait_loadcnt 0x6
	s_clause 0x1
	global_load_b64 v[32:33], v6, s[4:5] scale_offset
	global_load_b64 v[40:41], v7, s[4:5] scale_offset
	s_clause 0x7
	global_load_b64 v[16:17], v11, s[18:19] scale_offset
	global_load_b64 v[14:15], v10, s[18:19] scale_offset
	;; [unrolled: 1-line block ×8, first 2 shown]
	s_clause 0x7
	global_load_b64 v[46:47], v60, s[6:7] scale_offset
	global_load_b64 v[48:49], v10, s[6:7] scale_offset
	;; [unrolled: 1-line block ×7, first 2 shown]
	; meta instruction
	; meta instruction
	;; [unrolled: 1-line block ×5, first 2 shown]
	global_load_b64 v[2:3], v7, s[6:7] scale_offset
	global_load_b64 v[116:117], v8, s[16:17] scale_offset
	s_wait_loadcnt 0xe
	v_add_f64_e64 v[70:71], v[14:15], -v[30:31]
	s_wait_loadcnt 0xd
	v_add_f64_e64 v[72:73], v[16:17], -v[24:25]
	;; [unrolled: 2-line block ×5, first 2 shown]
	v_add_f64_e64 v[64:65], v[38:39], -v[22:23]
	s_wait_loadcnt 0x2
	v_add_f64_e64 v[98:99], v[58:59], -v[48:49]
	v_add_f64_e64 v[62:63], v[28:29], -v[42:43]
	;; [unrolled: 1-line block ×3, first 2 shown]
	s_wait_xcnt 0x1
	v_add_f64_e64 v[6:7], v[34:35], -v[40:41]
	s_wait_loadcnt 0x1
	v_add_f64_e64 v[124:125], v[2:3], -v[58:59]
	v_add_f64_e64 v[126:127], v[48:49], -v[2:3]
	s_wait_loadcnt 0x0
	scratch_store_b64 off, v[116:117], off offset:16 ; 8-byte Folded Spill
	v_add_f64_e64 v[80:81], v[70:71], -v[72:73]
	v_add_f64_e32 v[82:83], v[70:71], v[72:73]
	v_add_f64_e64 v[90:91], v[66:67], -v[76:77]
	v_add_f64_e32 v[76:77], v[66:67], v[76:77]
	;; [unrolled: 2-line block ×3, first 2 shown]
	s_delay_alu instid0(VALU_DEP_2) | instskip(NEXT) | instid1(VALU_DEP_2)
	v_mul_f64_e32 v[84:85], v[10:11], v[10:11]
	v_mul_f64_e32 v[86:87], v[10:11], v[68:69]
	v_add_f64_e64 v[10:11], v[52:53], -v[50:51]
	v_mul_f64_e32 v[88:89], v[68:69], v[68:69]
	v_add_f64_e64 v[68:69], v[56:57], -v[54:55]
	v_fmac_f64_e32 v[84:85], v[80:81], v[80:81]
	v_fmac_f64_e32 v[86:87], v[80:81], v[82:83]
	v_add_f64_e64 v[80:81], v[74:75], -v[10:11]
	v_fmac_f64_e32 v[88:89], v[82:83], v[82:83]
	v_add_f64_e32 v[82:83], v[74:75], v[10:11]
	s_delay_alu instid0(VALU_DEP_3) | instskip(NEXT) | instid1(VALU_DEP_2)
	v_fmac_f64_e32 v[84:85], v[80:81], v[80:81]
	v_fmac_f64_e32 v[86:87], v[80:81], v[82:83]
	s_delay_alu instid0(VALU_DEP_4) | instskip(SKIP_1) | instid1(VALU_DEP_3)
	v_fmac_f64_e32 v[88:89], v[82:83], v[82:83]
	v_add_f64_e64 v[80:81], v[40:41], -v[42:43]
	v_mul_f64_e32 v[82:83], v[86:87], v[86:87]
	v_add_f64_e64 v[86:87], v[32:33], -v[22:23]
	s_delay_alu instid0(VALU_DEP_2) | instskip(NEXT) | instid1(VALU_DEP_2)
	v_fma_f64 v[82:83], v[84:85], v[88:89], -v[82:83]
	v_add_f64_e64 v[84:85], v[80:81], -v[86:87]
	v_add_f64_e32 v[86:87], v[86:87], v[80:81]
	s_delay_alu instid0(VALU_DEP_3) | instskip(SKIP_1) | instid1(VALU_DEP_1)
	v_max_num_f64_e32 v[82:83], 0, v[82:83]
	v_add_f64_e64 v[60:61], v[44:45], -v[32:33]
	v_add_f64_e64 v[78:79], v[60:61], -v[6:7]
	v_add_f64_e32 v[6:7], v[60:61], v[6:7]
	s_delay_alu instid0(VALU_DEP_2) | instskip(NEXT) | instid1(VALU_DEP_2)
	v_mul_f64_e32 v[92:93], v[78:79], v[78:79]
	v_mul_f64_e32 v[94:95], v[78:79], v[6:7]
	v_add_f64_e64 v[78:79], v[58:59], -v[2:3]
	v_mul_f64_e32 v[6:7], v[6:7], v[6:7]
	s_delay_alu instid0(VALU_DEP_4) | instskip(NEXT) | instid1(VALU_DEP_4)
	v_fmac_f64_e32 v[92:93], v[90:91], v[90:91]
	v_fmac_f64_e32 v[94:95], v[90:91], v[76:77]
	s_delay_alu instid0(VALU_DEP_4) | instskip(NEXT) | instid1(VALU_DEP_4)
	v_add_f64_e32 v[90:91], v[68:69], v[78:79]
	v_fmac_f64_e32 v[6:7], v[76:77], v[76:77]
	v_add_f64_e64 v[76:77], v[68:69], -v[78:79]
	v_add_f64_e64 v[78:79], v[20:21], -v[30:31]
	s_delay_alu instid0(VALU_DEP_3) | instskip(NEXT) | instid1(VALU_DEP_3)
	v_fmac_f64_e32 v[6:7], v[90:91], v[90:91]
	v_fmac_f64_e32 v[94:95], v[76:77], v[90:91]
	;; [unrolled: 1-line block ×3, first 2 shown]
	v_add_f64_e64 v[76:77], v[18:19], -v[24:25]
	s_delay_alu instid0(VALU_DEP_3) | instskip(SKIP_1) | instid1(VALU_DEP_3)
	v_mul_f64_e32 v[90:91], v[94:95], v[94:95]
	v_add_f64_e64 v[94:95], v[20:21], -v[14:15]
	v_add_f64_e64 v[88:89], v[78:79], -v[76:77]
	v_add_f64_e32 v[76:77], v[76:77], v[78:79]
	s_delay_alu instid0(VALU_DEP_4) | instskip(SKIP_1) | instid1(VALU_DEP_2)
	v_fma_f64 v[6:7], v[92:93], v[6:7], -v[90:91]
	v_add_f64_e64 v[92:93], v[2:3], -v[46:47]
	v_cmp_gt_f64_e32 vcc_lo, v[6:7], v[82:83]
	v_dual_mul_f64 v[90:91], v[84:85], v[84:85] :: v_dual_cndmask_b32 v82, v82, v6, vcc_lo
	v_mul_f64_e32 v[84:85], v[84:85], v[86:87]
	v_mul_f64_e32 v[86:87], v[86:87], v[86:87]
	v_cndmask_b32_e32 v83, v83, v7, vcc_lo
	s_delay_alu instid0(VALU_DEP_4) | instskip(NEXT) | instid1(VALU_DEP_4)
	v_fmac_f64_e32 v[90:91], v[88:89], v[88:89]
	v_fmac_f64_e32 v[84:85], v[88:89], v[76:77]
	v_add_f64_e64 v[88:89], v[54:55], -v[50:51]
	v_fmac_f64_e32 v[86:87], v[76:77], v[76:77]
	s_delay_alu instid0(VALU_DEP_2) | instskip(SKIP_1) | instid1(VALU_DEP_2)
	v_add_f64_e64 v[76:77], v[92:93], -v[88:89]
	v_add_f64_e32 v[88:89], v[88:89], v[92:93]
	v_fmac_f64_e32 v[90:91], v[76:77], v[76:77]
	s_delay_alu instid0(VALU_DEP_2) | instskip(SKIP_2) | instid1(VALU_DEP_3)
	v_fmac_f64_e32 v[84:85], v[76:77], v[88:89]
	v_fmac_f64_e32 v[86:87], v[88:89], v[88:89]
	v_add_f64_e64 v[88:89], v[36:37], -v[24:25]
	v_mul_f64_e32 v[76:77], v[84:85], v[84:85]
	v_add_f64_e64 v[84:85], v[44:45], -v[22:23]
	s_delay_alu instid0(VALU_DEP_2) | instskip(NEXT) | instid1(VALU_DEP_2)
	v_fma_f64 v[86:87], v[90:91], v[86:87], -v[76:77]
	v_mul_f64_e32 v[76:77], v[78:79], v[84:85]
	v_add_f64_e64 v[90:91], v[56:57], -v[50:51]
	s_delay_alu instid0(VALU_DEP_3) | instskip(NEXT) | instid1(VALU_DEP_3)
	v_cmp_gt_f64_e32 vcc_lo, v[86:87], v[82:83]
	v_fma_f64 v[6:7], v[88:89], v[80:81], -v[76:77]
	s_delay_alu instid0(VALU_DEP_3) | instskip(SKIP_3) | instid1(VALU_DEP_4)
	v_mul_f64_e32 v[76:77], v[80:81], v[90:91]
	v_add_f64_e64 v[80:81], v[88:89], -v[94:95]
	v_add_f64_e32 v[94:95], v[94:95], v[88:89]
	v_dual_mul_f64 v[88:89], v[88:89], v[92:93] :: v_dual_cndmask_b32 v83, v83, v87, vcc_lo
	v_dual_fma_f64 v[76:77], v[84:85], v[92:93], -v[76:77] :: v_dual_cndmask_b32 v82, v82, v86, vcc_lo
	v_add_f64_e64 v[92:93], v[40:41], -v[28:29]
	v_add_f64_e64 v[86:87], v[36:37], -v[16:17]
	s_delay_alu instid0(VALU_DEP_4)
	v_fma_f64 v[78:79], v[78:79], v[90:91], -v[88:89]
	v_add_f64_e64 v[88:89], v[2:3], -v[48:49]
	scratch_store_b64 off, v[6:7], off      ; 8-byte Folded Spill
	v_add_f64_e64 v[96:97], v[84:85], -v[92:93]
	v_add_f64_e32 v[84:85], v[92:93], v[84:85]
	v_add_f64_e64 v[92:93], v[90:91], -v[88:89]
	v_add_f64_e32 v[88:89], v[88:89], v[90:91]
	s_delay_alu instid0(VALU_DEP_4) | instskip(NEXT) | instid1(VALU_DEP_4)
	v_mul_f64_e32 v[90:91], v[96:97], v[96:97]
	v_mul_f64_e32 v[96:97], v[96:97], v[84:85]
	s_delay_alu instid0(VALU_DEP_2) | instskip(NEXT) | instid1(VALU_DEP_2)
	v_fmac_f64_e32 v[90:91], v[80:81], v[80:81]
	v_fmac_f64_e32 v[96:97], v[80:81], v[94:95]
	v_mul_f64_e32 v[80:81], v[84:85], v[84:85]
	s_delay_alu instid0(VALU_DEP_3) | instskip(NEXT) | instid1(VALU_DEP_3)
	v_fmac_f64_e32 v[90:91], v[92:93], v[92:93]
	v_fmac_f64_e32 v[96:97], v[92:93], v[88:89]
	s_delay_alu instid0(VALU_DEP_3) | instskip(SKIP_1) | instid1(VALU_DEP_3)
	v_fmac_f64_e32 v[80:81], v[94:95], v[94:95]
	v_add_f64_e64 v[92:93], v[44:45], -v[38:39]
	v_mul_f64_e32 v[84:85], v[96:97], v[96:97]
	s_delay_alu instid0(VALU_DEP_3) | instskip(SKIP_1) | instid1(VALU_DEP_2)
	v_fmac_f64_e32 v[80:81], v[88:89], v[88:89]
	v_add_f64_e64 v[88:89], v[56:57], -v[52:53]
	v_fma_f64 v[80:81], v[90:91], v[80:81], -v[84:85]
	s_delay_alu instid0(VALU_DEP_2) | instskip(SKIP_1) | instid1(VALU_DEP_3)
	v_mul_f64_e32 v[84:85], v[62:63], v[88:89]
	v_add_f64_e64 v[90:91], v[34:35], -v[28:29]
	v_cmp_gt_f64_e32 vcc_lo, v[80:81], v[82:83]
	s_delay_alu instid0(VALU_DEP_3) | instskip(NEXT) | instid1(VALU_DEP_3)
	v_fma_f64 v[84:85], v[92:93], v[74:75], -v[84:85]
	v_add_f64_e32 v[64:65], v[64:65], v[90:91]
	v_add_f64_e64 v[94:95], v[90:91], -v[92:93]
	v_add_f64_e32 v[90:91], v[92:93], v[90:91]
	v_mul_f64_e32 v[92:93], v[70:71], v[92:93]
	v_mul_f64_e32 v[74:75], v[86:87], v[74:75]
	v_dual_cndmask_b32 v81, v83, v81 :: v_dual_cndmask_b32 v80, v82, v80
	s_wait_xcnt 0x0
	s_delay_alu instid0(VALU_DEP_3) | instskip(SKIP_1) | instid1(VALU_DEP_4)
	v_fma_f64 v[6:7], v[86:87], v[62:63], -v[92:93]
	v_add_f64_e64 v[62:63], v[26:27], -v[14:15]
	v_fma_f64 v[74:75], v[70:71], v[88:89], -v[74:75]
	global_load_b64 v[70:71], v8, s[12:13] scale_offset
	scratch_store_b64 off, v[6:7], off offset:8 ; 8-byte Folded Spill
	v_add_f64_e32 v[72:73], v[72:73], v[62:63]
	v_add_f64_e64 v[92:93], v[62:63], -v[86:87]
	v_add_f64_e32 v[62:63], v[86:87], v[62:63]
	v_mul_f64_e32 v[86:87], v[94:95], v[90:91]
	v_mul_f64_e32 v[90:91], v[90:91], v[90:91]
	;; [unrolled: 1-line block ×4, first 2 shown]
	s_delay_alu instid0(VALU_DEP_4) | instskip(NEXT) | instid1(VALU_DEP_4)
	v_fmac_f64_e32 v[86:87], v[92:93], v[62:63]
	v_fmac_f64_e32 v[90:91], v[62:63], v[62:63]
	v_add_f64_e64 v[62:63], v[98:99], -v[88:89]
	v_add_f64_e32 v[88:89], v[88:89], v[98:99]
	v_fmac_f64_e32 v[74:75], v[92:93], v[92:93]
	v_fmac_f64_e32 v[64:65], v[72:73], v[84:85]
	v_add_f64_e64 v[72:73], v[34:35], -v[42:43]
	v_add_f64_e64 v[92:93], v[32:33], -v[38:39]
	v_fmac_f64_e32 v[86:87], v[62:63], v[88:89]
	v_fmac_f64_e32 v[74:75], v[62:63], v[62:63]
	;; [unrolled: 1-line block ×3, first 2 shown]
	v_add_f64_e64 v[88:89], v[26:27], -v[30:31]
	v_add_f64_e64 v[62:63], v[58:59], -v[46:47]
	v_mul_f64_e32 v[82:83], v[72:73], v[68:69]
	v_mul_f64_e32 v[86:87], v[86:87], v[86:87]
	s_delay_alu instid0(VALU_DEP_3) | instskip(NEXT) | instid1(VALU_DEP_3)
	v_mul_f64_e32 v[84:85], v[66:67], v[62:63]
	v_fma_f64 v[82:83], v[60:61], v[62:63], -v[82:83]
	s_delay_alu instid0(VALU_DEP_3) | instskip(SKIP_1) | instid1(VALU_DEP_4)
	v_fma_f64 v[90:91], v[74:75], v[90:91], -v[86:87]
	v_mul_f64_e32 v[74:75], v[88:89], v[60:61]
	v_fma_f64 v[68:69], v[88:89], v[68:69], -v[84:85]
	v_add_f64_e64 v[84:85], v[18:19], -v[16:17]
	s_delay_alu instid0(VALU_DEP_4) | instskip(SKIP_1) | instid1(VALU_DEP_4)
	v_cmp_gt_f64_e32 vcc_lo, v[90:91], v[80:81]
	s_wait_xcnt 0x0
	v_fma_f64 v[6:7], v[66:67], v[72:73], -v[74:75]
	global_load_b64 v[74:75], v8, s[14:15] scale_offset
	v_add_f64_e64 v[66:67], v[92:93], -v[72:73]
	v_add_f64_e32 v[72:73], v[92:93], v[72:73]
	v_add_f64_e64 v[60:61], v[84:85], -v[88:89]
	v_add_f64_e32 v[86:87], v[84:85], v[88:89]
	s_delay_alu instid0(VALU_DEP_4) | instskip(NEXT) | instid1(VALU_DEP_4)
	v_mul_f64_e32 v[88:89], v[66:67], v[66:67]
	v_mul_f64_e32 v[66:67], v[66:67], v[72:73]
	s_delay_alu instid0(VALU_DEP_2) | instskip(NEXT) | instid1(VALU_DEP_2)
	v_fmac_f64_e32 v[88:89], v[60:61], v[60:61]
	v_fmac_f64_e32 v[66:67], v[60:61], v[86:87]
	v_mul_f64_e32 v[60:61], v[72:73], v[72:73]
	v_add_f64_e64 v[72:73], v[112:113], -v[62:63]
	v_add_f64_e32 v[62:63], v[112:113], v[62:63]
	s_delay_alu instid0(VALU_DEP_3) | instskip(NEXT) | instid1(VALU_DEP_3)
	v_fmac_f64_e32 v[60:61], v[86:87], v[86:87]
	v_fmac_f64_e32 v[88:89], v[72:73], v[72:73]
	s_delay_alu instid0(VALU_DEP_3) | instskip(SKIP_1) | instid1(VALU_DEP_4)
	v_fmac_f64_e32 v[66:67], v[72:73], v[62:63]
	v_add_f64_e64 v[72:73], v[20:21], -v[26:27]
	v_fmac_f64_e32 v[60:61], v[62:63], v[62:63]
	s_delay_alu instid0(VALU_DEP_3) | instskip(SKIP_1) | instid1(VALU_DEP_4)
	v_mul_f64_e32 v[62:63], v[66:67], v[66:67]
	v_add_f64_e64 v[66:67], v[40:41], -v[34:35]
	v_add_f64_e32 v[84:85], v[84:85], v[72:73]
	s_delay_alu instid0(VALU_DEP_3)
	v_fma_f64 v[86:87], v[88:89], v[60:61], -v[62:63]
	v_add_f64_e64 v[60:61], v[22:23], -v[32:33]
	v_add_f64_e64 v[62:63], v[28:29], -v[40:41]
	v_dual_cndmask_b32 v89, v81, v91 :: v_dual_cndmask_b32 v88, v80, v90
	v_add_f64_e32 v[80:81], v[92:93], v[66:67]
	v_add_f64_e64 v[90:91], v[24:25], -v[18:19]
	s_delay_alu instid0(VALU_DEP_3)
	v_cmp_gt_f64_e32 vcc_lo, v[86:87], v[88:89]
	v_add_f64_e32 v[92:93], v[60:61], v[62:63]
	v_add_f64_e64 v[60:61], v[14:15], -v[20:21]
	v_mul_f64_e32 v[80:81], v[80:81], v[68:69]
	s_clause 0x2
	global_load_b64 v[72:73], v9, s[12:13] scale_offset
	global_load_b64 v[68:69], v9, s[14:15] scale_offset
	;; [unrolled: 1-line block ×3, first 2 shown]
	v_dual_cndmask_b32 v115, v89, v87 :: v_dual_cndmask_b32 v114, v88, v86
	v_mul_f64_e32 v[78:79], v[92:93], v[78:79]
	v_add_f64_e32 v[90:91], v[90:91], v[60:61]
	v_fmac_f64_e32 v[80:81], v[84:85], v[82:83]
	s_clause 0x1
	global_load_b64 v[82:83], v5, s[14:15] scale_offset
	global_load_b64 v[84:85], v5, s[16:17] scale_offset
	v_cmp_gt_f64_e32 vcc_lo, 0x10000000, v[114:115]
	v_fmac_f64_e32 v[78:79], v[90:91], v[76:77]
	s_clause 0x3
	global_load_b64 v[76:77], v4, s[14:15] scale_offset
	global_load_b64 v[92:93], v4, s[16:17] scale_offset
	;; [unrolled: 1-line block ×4, first 2 shown]
	s_clause 0x1
	global_load_b64 v[86:87], v1, s[14:15] scale_offset
	global_load_b64 v[88:89], v1, s[16:17] scale_offset
	s_clause 0x1
	global_load_b64 v[94:95], v0, s[14:15] scale_offset
	global_load_b64 v[96:97], v0, s[16:17] scale_offset
	;; [unrolled: 3-line block ×3, first 2 shown]
	global_load_b64 v[110:111], v[12:13], off offset:24
	s_wait_xcnt 0x1
	v_add_f64_e64 v[0:1], v[50:51], -v[54:55]
	s_wait_loadcnt 0x0
	s_clause 0x1
	global_load_b64 v[102:103], v110, s[14:15] scale_offset
	global_load_b64 v[104:105], v111, s[14:15] scale_offset
	s_clause 0x1
	global_load_b64 v[12:13], v110, s[16:17] scale_offset
	global_load_b64 v[106:107], v111, s[16:17] scale_offset
	;; [unrolled: 3-line block ×3, first 2 shown]
	s_wait_xcnt 0x0
	s_load_b256 s[12:19], s[0:1], 0x60
	s_wait_kmcnt 0x0
	v_mul_f64_e64 v[118:119], s[18:19], 0.5
	s_delay_alu instid0(VALU_DEP_1)
	v_fma_f64 v[42:43], -v[118:119], v[74:75], v[42:43]
	v_fma_f64 v[38:39], -v[118:119], v[82:83], v[38:39]
	;; [unrolled: 1-line block ×16, first 2 shown]
	v_add_f64_e32 v[16:17], v[112:113], v[124:125]
	v_add_f64_e64 v[38:39], v[40:41], -v[38:39]
	v_add_f64_e64 v[24:25], v[32:33], -v[122:123]
	;; [unrolled: 1-line block ×3, first 2 shown]
	v_cndmask_b32_e64 v2, 0, 0x100, vcc_lo
	v_add_f64_e64 v[4:5], v[116:117], -v[4:5]
	v_add_f64_e64 v[22:23], v[28:29], -v[22:23]
	v_fmac_f64_e32 v[80:81], v[6:7], v[16:17]
	s_wait_loadcnt 0x5
	v_fma_f64 v[44:45], -v[118:119], v[102:103], v[44:45]
	v_add_f64_e64 v[74:75], v[74:75], -v[102:103]
	s_wait_loadcnt 0x4
	v_fma_f64 v[34:35], -v[118:119], v[104:105], v[34:35]
	v_add_f64_e64 v[68:69], v[68:69], -v[104:105]
	s_wait_loadcnt 0x3
	v_fma_f64 v[56:57], -v[118:119], v[12:13], v[56:57]
	s_wait_loadcnt 0x2
	v_fma_f64 v[58:59], -v[118:119], v[106:107], v[58:59]
	v_add_f64_e64 v[66:67], v[66:67], -v[106:107]
	s_wait_loadcnt 0x1
	v_fma_f64 v[36:37], -v[118:119], v[108:109], v[36:37]
	s_wait_loadcnt 0x0
	v_fma_f64 v[54:55], -v[118:119], v[110:111], v[26:27]
	v_fma_f64 v[26:27], -v[118:119], v[60:61], v[14:15]
	v_add_f64_e32 v[14:15], v[10:11], v[98:99]
	v_add_f64_e32 v[10:11], v[0:1], v[126:127]
	v_fma_f64 v[118:119], -v[118:119], v[8:9], v[18:19]
	v_ldexp_f64 v[18:19], v[114:115], v2
	global_load_b64 v[2:3], v100, s[10:11] scale_offset
	s_wait_xcnt 0x0
	s_load_b256 s[4:11], s[0:1], 0x40
	v_add_f64_e64 v[8:9], v[60:61], -v[8:9]
	v_add_f64_e64 v[0:1], v[44:45], -v[42:43]
	;; [unrolled: 1-line block ×8, first 2 shown]
	v_add_f64_e32 v[42:43], v[38:39], v[0:1]
	v_add_f64_e64 v[0:1], v[0:1], -v[38:39]
	v_add_f64_e32 v[28:29], v[40:41], v[32:33]
	v_add_f64_e64 v[32:33], v[32:33], -v[40:41]
	v_add_f64_e64 v[38:39], v[30:31], -v[4:5]
	v_add_f64_e32 v[4:5], v[4:5], v[30:31]
	v_rsq_f64_e32 v[30:31], v[18:19]
	v_add_f64_e64 v[44:45], v[42:43], -v[34:35]
	v_add_f64_e32 v[0:1], v[0:1], v[34:35]
	v_add_f64_e32 v[34:35], v[42:43], v[34:35]
	;; [unrolled: 1-line block ×3, first 2 shown]
	v_add_f64_e64 v[38:39], v[4:5], -v[36:37]
	v_add_f64_e32 v[4:5], v[4:5], v[36:37]
	v_add_f64_e64 v[36:37], v[28:29], -v[20:21]
	s_delay_alu instid0(TRANS32_DEP_1)
	v_mul_f64_e32 v[48:49], v[18:19], v[30:31]
	v_mul_f64_e32 v[30:31], 0.5, v[30:31]
	v_add_f64_e64 v[42:43], v[44:45], -v[24:25]
	v_add_f64_e64 v[0:1], v[0:1], -v[24:25]
	v_add_f64_e32 v[34:35], v[24:25], v[34:35]
	v_add_f64_e32 v[24:25], v[28:29], v[20:21]
	v_add_f64_e64 v[16:17], v[40:41], -v[26:27]
	v_add_f64_e64 v[50:51], v[38:39], -v[26:27]
	v_add_f64_e32 v[4:5], v[26:27], v[4:5]
	v_add_f64_e64 v[28:29], v[36:37], -v[22:23]
	v_fma_f64 v[46:47], -v[30:31], v[48:49], 0.5
	v_ldexp_f64 v[38:39], v[42:43], -3
	v_ldexp_f64 v[42:43], v[0:1], -3
	;; [unrolled: 1-line block ×3, first 2 shown]
	v_add_f64_e32 v[36:37], v[22:23], v[24:25]
	s_wait_kmcnt 0x0
	global_load_b64 v[34:35], v100, s[4:5] scale_offset
	v_ldexp_f64 v[44:45], v[4:5], -3
	v_ldexp_f64 v[24:25], v[28:29], -3
	scratch_load_b64 v[28:29], off, off offset:8 th:TH_LOAD_LU ; 8-byte Folded Reload
	v_fmac_f64_e32 v[48:49], v[48:49], v[46:47]
	v_fmac_f64_e32 v[30:31], v[30:31], v[46:47]
	v_ldexp_f64 v[46:47], v[16:17], -3
	v_ldexp_f64 v[52:53], v[36:37], -3
	;; [unrolled: 1-line block ×3, first 2 shown]
	v_mul_f64_e32 v[56:57], v[44:45], v[42:43]
	v_mul_f64_e32 v[6:7], v[44:45], v[24:25]
	v_fma_f64 v[4:5], -v[48:49], v[48:49], v[18:19]
	v_mul_f64_e32 v[50:51], v[46:47], v[52:53]
	s_delay_alu instid0(VALU_DEP_2) | instskip(SKIP_2) | instid1(VALU_DEP_2)
	v_fmac_f64_e32 v[48:49], v[4:5], v[30:31]
	v_add_f64_e32 v[4:5], v[32:33], v[20:21]
	v_mul_f64_e32 v[20:21], v[36:37], v[54:55]
	v_add_f64_e64 v[4:5], v[4:5], -v[22:23]
	s_delay_alu instid0(VALU_DEP_2) | instskip(NEXT) | instid1(VALU_DEP_2)
	v_fma_f64 v[20:21], v[44:45], v[38:39], -v[20:21]
	v_ldexp_f64 v[4:5], v[4:5], -3
	s_delay_alu instid0(VALU_DEP_1)
	v_fma_f64 v[50:51], v[44:45], v[4:5], -v[50:51]
	s_wait_loadcnt 0x0
	v_fmac_f64_e32 v[64:65], v[28:29], v[14:15]
	scratch_load_b64 v[14:15], off, off th:TH_LOAD_LU ; 8-byte Folded Reload
	v_add_f64_e32 v[0:1], v[64:65], v[80:81]
	v_add_f64_e64 v[64:65], v[70:71], -v[108:109]
	s_wait_loadcnt 0x0
	v_fmac_f64_e32 v[78:79], v[14:15], v[10:11]
	v_fma_f64 v[14:15], v[36:37], v[52:53], -v[6:7]
	v_fma_f64 v[6:7], -v[48:49], v[48:49], v[18:19]
	v_mul_f64_e32 v[10:11], v[38:39], v[52:53]
	s_delay_alu instid0(VALU_DEP_4) | instskip(NEXT) | instid1(VALU_DEP_4)
	v_add_f64_e32 v[0:1], v[78:79], v[0:1]
	v_mul_f64_e32 v[22:23], v[42:43], v[14:15]
	s_delay_alu instid0(VALU_DEP_4) | instskip(NEXT) | instid1(VALU_DEP_4)
	v_fmac_f64_e32 v[48:49], v[6:7], v[30:31]
	v_fma_f64 v[16:17], v[54:55], v[24:25], -v[10:11]
	v_add_f64_e32 v[60:61], v[50:51], v[14:15]
	v_mul_f64_e32 v[6:7], 0x3fb5555555555555, v[0:1]
	v_cndmask_b32_e64 v0, 0, 0xffffff80, vcc_lo
	v_cmp_class_f64_e64 vcc_lo, v[18:19], 0x260
	v_fmac_f64_e32 v[22:23], v[46:47], v[16:17]
	s_delay_alu instid0(VALU_DEP_3) | instskip(SKIP_2) | instid1(VALU_DEP_4)
	v_ldexp_f64 v[0:1], v[48:49], v0
	v_div_scale_f64 v[28:29], null, v[2:3], v[2:3], v[6:7]
	v_mul_f64_e32 v[10:11], 4.0, v[6:7]
	v_fmac_f64_e32 v[22:23], v[20:21], v[4:5]
	s_delay_alu instid0(VALU_DEP_4) | instskip(SKIP_2) | instid1(VALU_DEP_2)
	v_dual_cndmask_b32 v19, v1, v19 :: v_dual_cndmask_b32 v18, v0, v18
	v_mul_f64_e32 v[0:1], v[54:55], v[4:5]
	v_rcp_f64_e32 v[26:27], v[28:29]
	v_div_scale_f64 v[30:31], null, v[18:19], v[18:19], v[10:11]
	s_delay_alu instid0(VALU_DEP_4) | instskip(NEXT) | instid1(VALU_DEP_3)
	v_ldexp_f64 v[22:23], v[22:23], 3
	v_fma_f64 v[48:49], v[42:43], v[52:53], -v[0:1]
	v_fma_f64 v[52:53], v[46:47], v[54:55], -v[56:57]
	v_add_f64_e64 v[56:57], v[72:73], -v[110:111]
	v_div_scale_f64 v[72:73], vcc_lo, v[6:7], v[2:3], v[6:7]
	v_rcp_f64_e32 v[32:33], v[30:31]
	v_div_scale_f64 v[40:41], null, v[22:23], v[22:23], 1.0
	s_delay_alu instid0(TRANS32_DEP_2)
	v_fma_f64 v[0:1], -v[28:29], v[26:27], 1.0
	v_add_f64_e64 v[70:71], -v[48:49], -v[16:17]
	v_add_f64_e64 v[78:79], -v[52:53], -v[20:21]
	v_add_f64_e32 v[80:81], v[48:49], v[16:17]
	v_add_f64_e32 v[98:99], v[52:53], v[20:21]
	v_rcp_f64_e32 v[44:45], v[40:41]
	v_fmac_f64_e32 v[26:27], v[26:27], v[0:1]
	v_mul_f64_e32 v[0:1], v[42:43], v[24:25]
	s_delay_alu instid0(TRANS32_DEP_2) | instskip(NEXT) | instid1(VALU_DEP_2)
	v_fma_f64 v[54:55], -v[30:31], v[32:33], 1.0
	v_fma_f64 v[0:1], v[38:39], v[4:5], -v[0:1]
	v_mul_f64_e32 v[4:5], v[36:37], v[4:5]
	v_mul_f64_e32 v[38:39], v[46:47], v[38:39]
	s_delay_alu instid0(VALU_DEP_4) | instskip(NEXT) | instid1(TRANS32_DEP_1)
	v_fmac_f64_e32 v[32:33], v[32:33], v[54:55]
	v_fma_f64 v[54:55], -v[40:41], v[44:45], 1.0
	v_add_f64_e64 v[70:71], v[70:71], -v[0:1]
	v_fma_f64 v[4:5], v[46:47], v[24:25], -v[4:5]
	v_fma_f64 v[24:25], v[36:37], v[42:43], -v[38:39]
	v_add_f64_e64 v[36:37], v[48:49], -v[16:17]
	v_fmac_f64_e32 v[44:45], v[44:45], v[54:55]
	v_fma_f64 v[46:47], -v[28:29], v[26:27], 1.0
	v_add_f64_e64 v[38:39], v[50:51], -v[14:15]
	v_fma_f64 v[54:55], -v[30:31], v[32:33], 1.0
	v_add_f64_e64 v[42:43], v[52:53], -v[20:21]
	v_add_f64_e64 v[16:17], v[16:17], -v[48:49]
	;; [unrolled: 1-line block ×7, first 2 shown]
	v_fma_f64 v[58:59], -v[40:41], v[44:45], 1.0
	v_fmac_f64_e32 v[26:27], v[26:27], v[46:47]
	v_add_f64_e64 v[38:39], v[38:39], -v[4:5]
	v_div_scale_f64 v[46:47], s0, v[10:11], v[18:19], v[10:11]
	v_fmac_f64_e32 v[32:33], v[32:33], v[54:55]
	v_add_f64_e64 v[42:43], v[42:43], -v[24:25]
	v_div_scale_f64 v[54:55], s1, 1.0, v[22:23], 1.0
	v_add_f64_e64 v[0:1], v[16:17], -v[0:1]
	v_mul_f64_e32 v[36:37], v[56:57], v[36:37]
	scratch_load_b64 v[56:57], off, off offset:16 th:TH_LOAD_LU ; 8-byte Folded Reload
	v_fmac_f64_e32 v[44:45], v[44:45], v[58:59]
	v_add_f64_e64 v[58:59], -v[50:51], -v[14:15]
	v_mul_f64_e32 v[38:39], v[38:39], v[68:69]
	v_add_f64_e64 v[14:15], v[14:15], -v[50:51]
	v_mul_f64_e32 v[68:69], v[46:47], v[32:33]
	v_mul_f64_e32 v[42:43], v[42:43], v[66:67]
	v_add_f64_e64 v[50:51], v[76:77], -v[94:95]
	v_fmac_f64_e32 v[36:37], v[64:65], v[70:71]
	v_mul_f64_e32 v[66:67], v[54:55], v[44:45]
	v_add_f64_e64 v[58:59], v[58:59], -v[4:5]
	v_fma_f64 v[30:31], -v[30:31], v[68:69], v[46:47]
	v_add_f64_e64 v[46:47], v[60:61], -v[4:5]
	v_add_f64_e64 v[60:61], v[98:99], -v[24:25]
	;; [unrolled: 1-line block ×4, first 2 shown]
	v_fmac_f64_e32 v[36:37], v[8:9], v[48:49]
	v_fma_f64 v[40:41], -v[40:41], v[66:67], v[54:55]
	v_fmac_f64_e32 v[38:39], v[58:59], v[74:75]
	v_add_f64_e64 v[54:55], v[82:83], -v[86:87]
	v_add_f64_e64 v[58:59], v[84:85], -v[88:89]
	s_delay_alu instid0(VALU_DEP_3) | instskip(NEXT) | instid1(VALU_DEP_1)
	v_fmac_f64_e32 v[38:39], v[46:47], v[50:51]
	v_fmac_f64_e32 v[38:39], v[4:5], v[54:55]
	s_wait_loadcnt 0x0
	v_add_f64_e64 v[12:13], v[56:57], -v[12:13]
	v_mul_f64_e32 v[56:57], v[72:73], v[26:27]
	s_delay_alu instid0(VALU_DEP_2) | instskip(NEXT) | instid1(VALU_DEP_2)
	v_fmac_f64_e32 v[42:43], v[78:79], v[12:13]
	v_fma_f64 v[28:29], -v[28:29], v[56:57], v[72:73]
	v_add_f64_e64 v[12:13], v[62:63], -v[90:91]
	s_delay_alu instid0(VALU_DEP_3) | instskip(NEXT) | instid1(VALU_DEP_3)
	v_fmac_f64_e32 v[42:43], v[60:61], v[52:53]
	v_div_fmas_f64 v[8:9], v[28:29], v[26:27], v[56:57]
	s_mov_b32 vcc_lo, s0
	s_delay_alu instid0(VALU_DEP_3)
	v_fmac_f64_e32 v[36:37], v[0:1], v[12:13]
	v_div_fmas_f64 v[16:17], v[30:31], v[32:33], v[68:69]
	s_mov_b32 vcc_lo, s1
	v_div_fmas_f64 v[20:21], v[40:41], v[44:45], v[66:67]
	v_fmac_f64_e32 v[42:43], v[14:15], v[58:59]
	v_div_fixup_f64 v[2:3], v[8:9], v[2:3], v[6:7]
	s_delay_alu instid0(VALU_DEP_4) | instskip(NEXT) | instid1(VALU_DEP_4)
	v_div_fixup_f64 v[6:7], v[16:17], v[18:19], v[10:11]
	v_div_fixup_f64 v[0:1], v[20:21], v[22:23], 1.0
	s_delay_alu instid0(VALU_DEP_3) | instskip(NEXT) | instid1(VALU_DEP_2)
	v_add_f64_e64 v[4:5], v[2:3], -v[34:35]
	v_mul_f64_e32 v[8:9], v[0:1], v[36:37]
	v_mul_f64_e32 v[10:11], v[0:1], v[38:39]
	;; [unrolled: 1-line block ×3, first 2 shown]
	s_clause 0x5
	global_store_b64 v100, v[2:3], s[16:17] scale_offset
	global_store_b64 v100, v[4:5], s[6:7] scale_offset
	;; [unrolled: 1-line block ×6, first 2 shown]
.LBB10_2:
	s_sendmsg sendmsg(MSG_DEALLOC_VGPRS)
	s_endpgm
	.section	.rodata,"a",@progbits
	.p2align	6, 0x0
	.amdhsa_kernel _Z22calcKinematicsForElemsPKdS0_S0_S0_S0_S0_PKiS0_S0_PdS3_S3_S3_S3_S3_di
		.amdhsa_group_segment_fixed_size 0
		.amdhsa_private_segment_fixed_size 28
		.amdhsa_kernarg_size 392
		.amdhsa_user_sgpr_count 2
		.amdhsa_user_sgpr_dispatch_ptr 0
		.amdhsa_user_sgpr_queue_ptr 0
		.amdhsa_user_sgpr_kernarg_segment_ptr 1
		.amdhsa_user_sgpr_dispatch_id 0
		.amdhsa_user_sgpr_kernarg_preload_length 0
		.amdhsa_user_sgpr_kernarg_preload_offset 0
		.amdhsa_user_sgpr_private_segment_size 0
		.amdhsa_wavefront_size32 1
		.amdhsa_uses_dynamic_stack 0
		.amdhsa_enable_private_segment 1
		.amdhsa_system_sgpr_workgroup_id_x 1
		.amdhsa_system_sgpr_workgroup_id_y 0
		.amdhsa_system_sgpr_workgroup_id_z 0
		.amdhsa_system_sgpr_workgroup_info 0
		.amdhsa_system_vgpr_workitem_id 0
		.amdhsa_next_free_vgpr 128
		.amdhsa_next_free_sgpr 20
		.amdhsa_named_barrier_count 0
		.amdhsa_reserve_vcc 1
		.amdhsa_float_round_mode_32 0
		.amdhsa_float_round_mode_16_64 0
		.amdhsa_float_denorm_mode_32 3
		.amdhsa_float_denorm_mode_16_64 3
		.amdhsa_fp16_overflow 0
		.amdhsa_memory_ordered 1
		.amdhsa_forward_progress 1
		.amdhsa_inst_pref_size 31
		.amdhsa_round_robin_scheduling 0
		.amdhsa_exception_fp_ieee_invalid_op 0
		.amdhsa_exception_fp_denorm_src 0
		.amdhsa_exception_fp_ieee_div_zero 0
		.amdhsa_exception_fp_ieee_overflow 0
		.amdhsa_exception_fp_ieee_underflow 0
		.amdhsa_exception_fp_ieee_inexact 0
		.amdhsa_exception_int_div_zero 0
	.end_amdhsa_kernel
	.text
.Lfunc_end10:
	.size	_Z22calcKinematicsForElemsPKdS0_S0_S0_S0_S0_PKiS0_S0_PdS3_S3_S3_S3_S3_di, .Lfunc_end10-_Z22calcKinematicsForElemsPKdS0_S0_S0_S0_S0_PKiS0_S0_PdS3_S3_S3_S3_S3_di
                                        ; -- End function
	.set _Z22calcKinematicsForElemsPKdS0_S0_S0_S0_S0_PKiS0_S0_PdS3_S3_S3_S3_S3_di.num_vgpr, 128
	.set _Z22calcKinematicsForElemsPKdS0_S0_S0_S0_S0_PKiS0_S0_PdS3_S3_S3_S3_S3_di.num_agpr, 0
	.set _Z22calcKinematicsForElemsPKdS0_S0_S0_S0_S0_PKiS0_S0_PdS3_S3_S3_S3_S3_di.numbered_sgpr, 20
	.set _Z22calcKinematicsForElemsPKdS0_S0_S0_S0_S0_PKiS0_S0_PdS3_S3_S3_S3_S3_di.num_named_barrier, 0
	.set _Z22calcKinematicsForElemsPKdS0_S0_S0_S0_S0_PKiS0_S0_PdS3_S3_S3_S3_S3_di.private_seg_size, 28
	.set _Z22calcKinematicsForElemsPKdS0_S0_S0_S0_S0_PKiS0_S0_PdS3_S3_S3_S3_S3_di.uses_vcc, 1
	.set _Z22calcKinematicsForElemsPKdS0_S0_S0_S0_S0_PKiS0_S0_PdS3_S3_S3_S3_S3_di.uses_flat_scratch, 0
	.set _Z22calcKinematicsForElemsPKdS0_S0_S0_S0_S0_PKiS0_S0_PdS3_S3_S3_S3_S3_di.has_dyn_sized_stack, 0
	.set _Z22calcKinematicsForElemsPKdS0_S0_S0_S0_S0_PKiS0_S0_PdS3_S3_S3_S3_S3_di.has_recursion, 0
	.set _Z22calcKinematicsForElemsPKdS0_S0_S0_S0_S0_PKiS0_S0_PdS3_S3_S3_S3_S3_di.has_indirect_call, 0
	.section	.AMDGPU.csdata,"",@progbits
; Kernel info:
; codeLenInByte = 3844
; TotalNumSgprs: 22
; NumVgprs: 128
; ScratchSize: 28
; MemoryBound: 0
; FloatMode: 240
; IeeeMode: 1
; LDSByteSize: 0 bytes/workgroup (compile time only)
; SGPRBlocks: 0
; VGPRBlocks: 7
; NumSGPRsForWavesPerEU: 22
; NumVGPRsForWavesPerEU: 128
; NamedBarCnt: 0
; Occupancy: 8
; WaveLimiterHint : 1
; COMPUTE_PGM_RSRC2:SCRATCH_EN: 1
; COMPUTE_PGM_RSRC2:USER_SGPR: 2
; COMPUTE_PGM_RSRC2:TRAP_HANDLER: 0
; COMPUTE_PGM_RSRC2:TGID_X_EN: 1
; COMPUTE_PGM_RSRC2:TGID_Y_EN: 0
; COMPUTE_PGM_RSRC2:TGID_Z_EN: 0
; COMPUTE_PGM_RSRC2:TIDIG_COMP_CNT: 0
	.text
	.protected	_Z15calcStrainRatesPdS_S_PKdS_Pii ; -- Begin function _Z15calcStrainRatesPdS_S_PKdS_Pii
	.globl	_Z15calcStrainRatesPdS_S_PKdS_Pii
	.p2align	8
	.type	_Z15calcStrainRatesPdS_S_PKdS_Pii,@function
_Z15calcStrainRatesPdS_S_PKdS_Pii:      ; @_Z15calcStrainRatesPdS_S_PKdS_Pii
; %bb.0:
	s_clause 0x1
	s_load_b32 s2, s[0:1], 0x44
	s_load_b32 s3, s[0:1], 0x30
	s_bfe_u32 s4, ttmp6, 0x4000c
	s_and_b32 s5, ttmp6, 15
	s_add_co_i32 s4, s4, 1
	s_getreg_b32 s6, hwreg(HW_REG_IB_STS2, 6, 4)
	s_mul_i32 s4, ttmp9, s4
	s_delay_alu instid0(SALU_CYCLE_1) | instskip(SKIP_4) | instid1(SALU_CYCLE_1)
	s_add_co_i32 s5, s5, s4
	s_wait_kmcnt 0x0
	s_and_b32 s2, s2, 0xffff
	s_cmp_eq_u32 s6, 0
	s_cselect_b32 s4, ttmp9, s5
	v_mad_u32 v0, s4, s2, v0
	s_mov_b32 s2, exec_lo
	s_delay_alu instid0(VALU_DEP_1)
	v_cmpx_gt_i32_e64 s3, v0
	s_cbranch_execz .LBB11_3
; %bb.1:
	s_clause 0x1
	s_load_b256 s[4:11], s[0:1], 0x0
	s_load_b64 s[2:3], s[0:1], 0x20
	s_wait_kmcnt 0x0
	s_clause 0x3
	global_load_b64 v[2:3], v0, s[4:5] scale_offset
	global_load_b64 v[4:5], v0, s[6:7] scale_offset
	;; [unrolled: 1-line block ×4, first 2 shown]
	s_wait_loadcnt 0x2
	v_add_f64_e32 v[10:11], v[2:3], v[4:5]
	s_wait_loadcnt 0x1
	s_delay_alu instid0(VALU_DEP_1) | instskip(NEXT) | instid1(VALU_DEP_1)
	v_add_f64_e32 v[10:11], v[10:11], v[6:7]
	v_div_scale_f64 v[12:13], null, 0x40080000, 0x40080000, v[10:11]
	v_div_scale_f64 v[18:19], vcc_lo, v[10:11], 0x40080000, v[10:11]
	s_delay_alu instid0(VALU_DEP_2) | instskip(SKIP_1) | instid1(TRANS32_DEP_1)
	v_rcp_f64_e32 v[14:15], v[12:13]
	v_nop
	v_fma_f64 v[16:17], -v[12:13], v[14:15], 1.0
	s_delay_alu instid0(VALU_DEP_1) | instskip(NEXT) | instid1(VALU_DEP_1)
	v_fmac_f64_e32 v[14:15], v[14:15], v[16:17]
	v_fma_f64 v[16:17], -v[12:13], v[14:15], 1.0
	s_delay_alu instid0(VALU_DEP_1) | instskip(NEXT) | instid1(VALU_DEP_1)
	v_fmac_f64_e32 v[14:15], v[14:15], v[16:17]
	v_mul_f64_e32 v[16:17], v[18:19], v[14:15]
	s_delay_alu instid0(VALU_DEP_1) | instskip(NEXT) | instid1(VALU_DEP_1)
	v_fma_f64 v[12:13], -v[12:13], v[16:17], v[18:19]
	v_div_fmas_f64 v[12:13], v[12:13], v[14:15], v[16:17]
	s_wait_loadcnt 0x0
	v_cmp_ge_f64_e32 vcc_lo, 0, v[8:9]
	s_delay_alu instid0(VALU_DEP_2) | instskip(NEXT) | instid1(VALU_DEP_1)
	v_div_fixup_f64 v[12:13], v[12:13], 0x40080000, v[10:11]
	v_add_f64_e64 v[2:3], v[2:3], -v[12:13]
	v_add_f64_e64 v[4:5], v[4:5], -v[12:13]
	;; [unrolled: 1-line block ×3, first 2 shown]
	s_clause 0x3
	global_store_b64 v0, v[10:11], s[2:3] scale_offset
	global_store_b64 v0, v[2:3], s[4:5] scale_offset
	;; [unrolled: 1-line block ×4, first 2 shown]
	s_wait_xcnt 0x0
	s_and_b32 exec_lo, exec_lo, vcc_lo
	s_cbranch_execz .LBB11_3
; %bb.2:
	s_load_b64 s[0:1], s[0:1], 0x28
	v_mov_b32_e32 v1, 0
	s_wait_kmcnt 0x0
	global_store_b32 v1, v0, s[0:1]
.LBB11_3:
	s_endpgm
	.section	.rodata,"a",@progbits
	.p2align	6, 0x0
	.amdhsa_kernel _Z15calcStrainRatesPdS_S_PKdS_Pii
		.amdhsa_group_segment_fixed_size 0
		.amdhsa_private_segment_fixed_size 0
		.amdhsa_kernarg_size 312
		.amdhsa_user_sgpr_count 2
		.amdhsa_user_sgpr_dispatch_ptr 0
		.amdhsa_user_sgpr_queue_ptr 0
		.amdhsa_user_sgpr_kernarg_segment_ptr 1
		.amdhsa_user_sgpr_dispatch_id 0
		.amdhsa_user_sgpr_kernarg_preload_length 0
		.amdhsa_user_sgpr_kernarg_preload_offset 0
		.amdhsa_user_sgpr_private_segment_size 0
		.amdhsa_wavefront_size32 1
		.amdhsa_uses_dynamic_stack 0
		.amdhsa_enable_private_segment 0
		.amdhsa_system_sgpr_workgroup_id_x 1
		.amdhsa_system_sgpr_workgroup_id_y 0
		.amdhsa_system_sgpr_workgroup_id_z 0
		.amdhsa_system_sgpr_workgroup_info 0
		.amdhsa_system_vgpr_workitem_id 0
		.amdhsa_next_free_vgpr 20
		.amdhsa_next_free_sgpr 12
		.amdhsa_named_barrier_count 0
		.amdhsa_reserve_vcc 1
		.amdhsa_float_round_mode_32 0
		.amdhsa_float_round_mode_16_64 0
		.amdhsa_float_denorm_mode_32 3
		.amdhsa_float_denorm_mode_16_64 3
		.amdhsa_fp16_overflow 0
		.amdhsa_memory_ordered 1
		.amdhsa_forward_progress 1
		.amdhsa_inst_pref_size 4
		.amdhsa_round_robin_scheduling 0
		.amdhsa_exception_fp_ieee_invalid_op 0
		.amdhsa_exception_fp_denorm_src 0
		.amdhsa_exception_fp_ieee_div_zero 0
		.amdhsa_exception_fp_ieee_overflow 0
		.amdhsa_exception_fp_ieee_underflow 0
		.amdhsa_exception_fp_ieee_inexact 0
		.amdhsa_exception_int_div_zero 0
	.end_amdhsa_kernel
	.text
.Lfunc_end11:
	.size	_Z15calcStrainRatesPdS_S_PKdS_Pii, .Lfunc_end11-_Z15calcStrainRatesPdS_S_PKdS_Pii
                                        ; -- End function
	.set _Z15calcStrainRatesPdS_S_PKdS_Pii.num_vgpr, 20
	.set _Z15calcStrainRatesPdS_S_PKdS_Pii.num_agpr, 0
	.set _Z15calcStrainRatesPdS_S_PKdS_Pii.numbered_sgpr, 12
	.set _Z15calcStrainRatesPdS_S_PKdS_Pii.num_named_barrier, 0
	.set _Z15calcStrainRatesPdS_S_PKdS_Pii.private_seg_size, 0
	.set _Z15calcStrainRatesPdS_S_PKdS_Pii.uses_vcc, 1
	.set _Z15calcStrainRatesPdS_S_PKdS_Pii.uses_flat_scratch, 0
	.set _Z15calcStrainRatesPdS_S_PKdS_Pii.has_dyn_sized_stack, 0
	.set _Z15calcStrainRatesPdS_S_PKdS_Pii.has_recursion, 0
	.set _Z15calcStrainRatesPdS_S_PKdS_Pii.has_indirect_call, 0
	.section	.AMDGPU.csdata,"",@progbits
; Kernel info:
; codeLenInByte = 432
; TotalNumSgprs: 14
; NumVgprs: 20
; ScratchSize: 0
; MemoryBound: 0
; FloatMode: 240
; IeeeMode: 1
; LDSByteSize: 0 bytes/workgroup (compile time only)
; SGPRBlocks: 0
; VGPRBlocks: 1
; NumSGPRsForWavesPerEU: 14
; NumVGPRsForWavesPerEU: 20
; NamedBarCnt: 0
; Occupancy: 16
; WaveLimiterHint : 0
; COMPUTE_PGM_RSRC2:SCRATCH_EN: 0
; COMPUTE_PGM_RSRC2:USER_SGPR: 2
; COMPUTE_PGM_RSRC2:TRAP_HANDLER: 0
; COMPUTE_PGM_RSRC2:TGID_X_EN: 1
; COMPUTE_PGM_RSRC2:TGID_Y_EN: 0
; COMPUTE_PGM_RSRC2:TGID_Z_EN: 0
; COMPUTE_PGM_RSRC2:TIDIG_COMP_CNT: 0
	.text
	.protected	_Z31calcMonotonicQGradientsForElemsPKdS0_S0_S0_S0_S0_PKiS0_PdS3_S3_S3_S3_S3_S0_i ; -- Begin function _Z31calcMonotonicQGradientsForElemsPKdS0_S0_S0_S0_S0_PKiS0_PdS3_S3_S3_S3_S3_S0_i
	.globl	_Z31calcMonotonicQGradientsForElemsPKdS0_S0_S0_S0_S0_PKiS0_PdS3_S3_S3_S3_S3_S0_i
	.p2align	8
	.type	_Z31calcMonotonicQGradientsForElemsPKdS0_S0_S0_S0_S0_PKiS0_PdS3_S3_S3_S3_S3_S0_i,@function
_Z31calcMonotonicQGradientsForElemsPKdS0_S0_S0_S0_S0_PKiS0_PdS3_S3_S3_S3_S3_S0_i: ; @_Z31calcMonotonicQGradientsForElemsPKdS0_S0_S0_S0_S0_PKiS0_PdS3_S3_S3_S3_S3_S0_i
; %bb.0:
	s_clause 0x1
	s_load_b32 s2, s[0:1], 0x8c
	s_load_b32 s3, s[0:1], 0x78
	s_bfe_u32 s4, ttmp6, 0x4000c
	s_and_b32 s5, ttmp6, 15
	s_add_co_i32 s4, s4, 1
	s_getreg_b32 s6, hwreg(HW_REG_IB_STS2, 6, 4)
	s_mul_i32 s4, ttmp9, s4
	s_delay_alu instid0(SALU_CYCLE_1) | instskip(SKIP_4) | instid1(SALU_CYCLE_1)
	s_add_co_i32 s5, s5, s4
	s_wait_kmcnt 0x0
	s_and_b32 s2, s2, 0xffff
	s_cmp_eq_u32 s6, 0
	s_cselect_b32 s4, ttmp9, s5
	v_mad_u32 v68, s4, s2, v0
	s_mov_b32 s2, exec_lo
	s_delay_alu instid0(VALU_DEP_1)
	v_cmpx_gt_i32_e64 s3, v68
	s_cbranch_execz .LBB12_2
; %bb.1:
	s_load_b256 s[16:23], s[0:1], 0x20
	v_lshlrev_b32_e32 v0, 3, v68
	s_clause 0x1
	s_load_b256 s[8:15], s[0:1], 0x0
	s_load_b64 s[2:3], s[0:1], 0x70
	s_delay_alu instid0(VALU_DEP_1) | instskip(SKIP_1) | instid1(VALU_DEP_1)
	v_ashrrev_i32_e32 v1, 31, v0
	s_wait_kmcnt 0x0
	v_lshl_add_u64 v[8:9], v[0:1], 2, s[20:21]
	s_clause 0x1
	global_load_b128 v[4:7], v[8:9], off
	global_load_b128 v[0:3], v[8:9], off offset:16
	s_wait_loadcnt 0x1
	s_clause 0x2
	global_load_b64 v[14:15], v5, s[18:19] scale_offset
	global_load_b64 v[12:13], v6, s[18:19] scale_offset
	global_load_b64 v[8:9], v7, s[18:19] scale_offset
	s_clause 0x1
	global_load_b64 v[16:17], v5, s[14:15] scale_offset
	global_load_b64 v[10:11], v6, s[14:15] scale_offset
	;; [unrolled: 1-line block ×3, first 2 shown]
	s_clause 0x1
	global_load_b64 v[18:19], v7, s[14:15] scale_offset
	global_load_b64 v[40:41], v4, s[14:15] scale_offset
	s_wait_loadcnt 0x8
	s_clause 0x1
	global_load_b64 v[22:23], v0, s[18:19] scale_offset
	global_load_b64 v[24:25], v1, s[18:19] scale_offset
	s_clause 0x3
	global_load_b64 v[26:27], v6, s[16:17] scale_offset
	global_load_b64 v[20:21], v7, s[16:17] scale_offset
	global_load_b64 v[34:35], v5, s[16:17] scale_offset
	global_load_b64 v[44:45], v4, s[16:17] scale_offset
	s_clause 0x1
	global_load_b64 v[38:39], v2, s[14:15] scale_offset
	global_load_b64 v[46:47], v2, s[18:19] scale_offset
	s_clause 0x2
	global_load_b64 v[32:33], v3, s[14:15] scale_offset
	global_load_b64 v[50:51], v1, s[14:15] scale_offset
	global_load_b64 v[42:43], v0, s[14:15] scale_offset
	s_clause 0x2
	global_load_b64 v[30:31], v1, s[16:17] scale_offset
	;; [unrolled: 4-line block ×3, first 2 shown]
	global_load_b64 v[52:53], v3, s[16:17] scale_offset
	s_wait_xcnt 0x0
	s_load_b128 s[16:19], s[0:1], 0x60
	s_clause 0x1
	global_load_b64 v[64:65], v68, s[22:23] scale_offset
	global_load_b64 v[66:67], v68, s[2:3] scale_offset
	s_wait_loadcnt 0x17
	v_add_f64_e32 v[58:59], v[12:13], v[8:9]
	s_wait_loadcnt 0x15
	v_add_f64_e32 v[60:61], v[16:17], v[10:11]
	;; [unrolled: 2-line block ×3, first 2 shown]
	v_add_f64_e32 v[14:15], v[14:15], v[12:13]
	s_wait_loadcnt 0x12
	v_add_f64_e32 v[62:63], v[40:41], v[18:19]
	v_add_f64_e32 v[16:17], v[40:41], v[16:17]
	s_wait_loadcnt 0x10
	v_add_f64_e32 v[70:71], v[22:23], v[24:25]
	v_add_f64_e32 v[40:41], v[10:11], v[18:19]
	s_wait_loadcnt 0xe
	v_add_f64_e32 v[72:73], v[26:27], v[20:21]
	v_add_f64_e32 v[36:37], v[36:37], v[8:9]
	s_wait_loadcnt 0xc
	v_add_f64_e32 v[74:75], v[44:45], v[34:35]
	v_add_f64_e32 v[34:35], v[34:35], v[26:27]
	v_add_f64_e32 v[44:45], v[44:45], v[20:21]
	s_wait_loadcnt 0x7
	v_add_f64_e32 v[78:79], v[42:43], v[50:51]
	s_wait_loadcnt 0x5
	v_add_f64_e32 v[80:81], v[28:29], v[30:31]
	v_add_f64_e32 v[58:59], v[58:59], v[46:47]
	;; [unrolled: 1-line block ×10, first 2 shown]
	s_wait_loadcnt 0x4
	v_add_f64_e32 v[72:73], v[72:73], v[48:49]
	s_wait_loadcnt 0x3
	v_add_f64_e32 v[36:37], v[36:37], v[54:55]
	v_add_f64_e32 v[56:57], v[74:75], v[30:31]
	;; [unrolled: 1-line block ×4, first 2 shown]
	s_wait_loadcnt 0x2
	v_add_f64_e32 v[16:17], v[44:45], v[52:53]
	v_add_f64_e32 v[38:39], v[78:79], v[38:39]
	;; [unrolled: 1-line block ×22, first 2 shown]
	v_add_f64_e64 v[36:37], v[60:61], -v[58:59]
	v_add_f64_e64 v[46:47], v[50:51], -v[62:63]
	;; [unrolled: 1-line block ×9, first 2 shown]
	v_ldexp_f64 v[22:23], -v[36:37], -2
	v_ldexp_f64 v[30:31], v[46:47], -2
	v_ldexp_f64 v[24:25], v[8:9], -2
	v_ldexp_f64 v[20:21], -v[28:29], -2
	v_ldexp_f64 v[26:27], v[12:13], -2
	v_ldexp_f64 v[8:9], -v[14:15], -2
	v_ldexp_f64 v[28:29], v[10:11], -2
	v_ldexp_f64 v[32:33], v[18:19], -2
	;; [unrolled: 1-line block ×3, first 2 shown]
	v_mul_f64_e32 v[12:13], v[30:31], v[22:23]
	v_mul_f64_e32 v[10:11], v[20:21], v[24:25]
	;; [unrolled: 1-line block ×5, first 2 shown]
	v_fma_f64 v[16:17], v[20:21], v[26:27], -v[12:13]
	v_fma_f64 v[18:19], v[28:29], v[22:23], -v[10:11]
	v_mul_f64_e32 v[10:11], v[28:29], v[8:9]
	v_fma_f64 v[12:13], v[34:35], v[22:23], -v[14:15]
	v_fma_f64 v[14:15], v[8:9], v[24:25], -v[36:37]
	;; [unrolled: 1-line block ×3, first 2 shown]
	v_mov_b64_e32 v[38:39], 0x38754484932d2e72
	s_wait_loadcnt 0x0
	s_delay_alu instid0(VALU_DEP_1) | instskip(SKIP_3) | instid1(VALU_DEP_4)
	v_fmac_f64_e32 v[38:39], v[64:65], v[66:67]
	v_mul_f64_e32 v[22:23], v[16:17], v[16:17]
	v_mul_f64_e32 v[36:37], v[18:19], v[18:19]
	v_fma_f64 v[10:11], v[20:21], v[32:33], -v[10:11]
	v_div_scale_f64 v[40:41], null, v[38:39], v[38:39], 1.0
	v_div_scale_f64 v[52:53], vcc_lo, 1.0, v[38:39], 1.0
	v_fmac_f64_e32 v[22:23], v[12:13], v[12:13]
	v_fmac_f64_e32 v[36:37], v[14:15], v[14:15]
	s_delay_alu instid0(VALU_DEP_4) | instskip(NEXT) | instid1(VALU_DEP_2)
	v_rcp_f64_e32 v[44:45], v[40:41]
	v_fmac_f64_e32 v[22:23], v[8:9], v[8:9]
	s_delay_alu instid0(VALU_DEP_2) | instskip(NEXT) | instid1(TRANS32_DEP_1)
	v_fmac_f64_e32 v[36:37], v[10:11], v[10:11]
	v_fma_f64 v[48:49], -v[40:41], v[44:45], 1.0
	s_delay_alu instid0(VALU_DEP_3) | instskip(SKIP_1) | instid1(VALU_DEP_4)
	v_add_f64_e32 v[20:21], 0x38754484932d2e72, v[22:23]
	v_mul_f64_e32 v[22:23], v[28:29], v[26:27]
	v_add_f64_e32 v[36:37], 0x38754484932d2e72, v[36:37]
	s_delay_alu instid0(VALU_DEP_4) | instskip(NEXT) | instid1(VALU_DEP_4)
	v_fmac_f64_e32 v[44:45], v[44:45], v[48:49]
	v_cmp_gt_f64_e64 s2, 0x10000000, v[20:21]
	s_delay_alu instid0(VALU_DEP_3) | instskip(NEXT) | instid1(VALU_DEP_2)
	v_cmp_gt_f64_e64 s3, 0x10000000, v[36:37]
	v_cndmask_b32_e64 v42, 0, 0x100, s2
	s_delay_alu instid0(VALU_DEP_1) | instskip(SKIP_4) | instid1(VALU_DEP_2)
	v_ldexp_f64 v[42:43], v[20:21], v42
	v_mul_f64_e32 v[20:21], v[34:35], v[24:25]
	v_fma_f64 v[24:25], v[30:31], v[24:25], -v[22:23]
	v_cndmask_b32_e64 v22, 0, 0x100, s3
	v_mul_f64_e32 v[30:31], v[30:31], v[32:33]
	v_ldexp_f64 v[36:37], v[36:37], v22
	v_rsq_f64_e32 v[46:47], v[42:43]
	v_fma_f64 v[22:23], v[32:33], v[26:27], -v[20:21]
	v_mul_f64_e32 v[26:27], v[24:25], v[24:25]
	s_delay_alu instid0(VALU_DEP_4) | instskip(SKIP_2) | instid1(VALU_DEP_3)
	v_fma_f64 v[20:21], v[28:29], v[34:35], -v[30:31]
	v_fma_f64 v[34:35], -v[40:41], v[44:45], 1.0
	v_rsq_f64_e32 v[32:33], v[36:37]
	v_fmac_f64_e32 v[26:27], v[22:23], v[22:23]
	s_delay_alu instid0(VALU_DEP_2) | instskip(NEXT) | instid1(TRANS32_DEP_2)
	v_fmac_f64_e32 v[44:45], v[44:45], v[34:35]
	v_mul_f64_e32 v[50:51], v[42:43], v[46:47]
	v_mul_f64_e32 v[46:47], 0.5, v[46:47]
	s_clause 0x4
	global_load_b64 v[34:35], v0, s[8:9] scale_offset
	global_load_b64 v[54:55], v1, s[8:9] scale_offset
	;; [unrolled: 1-line block ×5, first 2 shown]
	s_clause 0x4
	global_load_b64 v[62:63], v0, s[10:11] scale_offset
	global_load_b64 v[70:71], v1, s[10:11] scale_offset
	;; [unrolled: 1-line block ×5, first 2 shown]
	v_mul_f64_e32 v[28:29], v[36:37], v[32:33]
	v_mul_f64_e32 v[32:33], 0.5, v[32:33]
	v_fmac_f64_e32 v[26:27], v[20:21], v[20:21]
	v_mul_f64_e32 v[78:79], v[52:53], v[44:45]
	v_fma_f64 v[30:31], -v[46:47], v[50:51], 0.5
	s_delay_alu instid0(VALU_DEP_4) | instskip(NEXT) | instid1(VALU_DEP_4)
	v_fma_f64 v[48:49], -v[32:33], v[28:29], 0.5
	v_add_f64_e32 v[26:27], 0x38754484932d2e72, v[26:27]
	s_delay_alu instid0(VALU_DEP_4) | instskip(NEXT) | instid1(VALU_DEP_4)
	v_fma_f64 v[40:41], -v[40:41], v[78:79], v[52:53]
	v_fmac_f64_e32 v[50:51], v[50:51], v[30:31]
	v_fmac_f64_e32 v[46:47], v[46:47], v[30:31]
	;; [unrolled: 1-line block ×4, first 2 shown]
	s_clause 0x1
	global_load_b64 v[48:49], v2, s[8:9] scale_offset
	global_load_b64 v[80:81], v2, s[10:11] scale_offset
	s_clause 0x4
	global_load_b64 v[82:83], v0, s[12:13] scale_offset
	global_load_b64 v[84:85], v1, s[12:13] scale_offset
	;; [unrolled: 1-line block ×5, first 2 shown]
	v_cmp_gt_f64_e64 s4, 0x10000000, v[26:27]
	v_div_fmas_f64 v[40:41], v[40:41], v[44:45], v[78:79]
	global_load_b64 v[78:79], v4, s[8:9] scale_offset
	v_fma_f64 v[30:31], -v[50:51], v[50:51], v[42:43]
	v_cmp_class_f64_e64 vcc_lo, v[42:43], 0x260
	v_cndmask_b32_e64 v69, 0, 0x100, s4
	v_div_fixup_f64 v[38:39], v[40:41], v[38:39], 1.0
	s_delay_alu instid0(VALU_DEP_4) | instskip(SKIP_1) | instid1(VALU_DEP_4)
	v_fmac_f64_e32 v[50:51], v[30:31], v[46:47]
	v_fma_f64 v[30:31], -v[28:29], v[28:29], v[36:37]
	v_ldexp_f64 v[26:27], v[26:27], v69
	v_cndmask_b32_e64 v69, 0, 0xffffff80, s4
	v_mul_f64_e32 v[16:17], v[16:17], v[38:39]
	v_mul_f64_e32 v[18:19], v[18:19], v[38:39]
	v_fma_f64 v[52:53], -v[50:51], v[50:51], v[42:43]
	v_fmac_f64_e32 v[28:29], v[30:31], v[32:33]
	v_rsq_f64_e32 v[0:1], v[26:27]
	global_load_b64 v[30:31], v2, s[12:13] scale_offset
	v_mul_f64_e32 v[24:25], v[24:25], v[38:39]
	v_mul_f64_e32 v[12:13], v[12:13], v[38:39]
	;; [unrolled: 1-line block ×7, first 2 shown]
	v_fmac_f64_e32 v[50:51], v[52:53], v[46:47]
	v_fma_f64 v[46:47], -v[28:29], v[28:29], v[36:37]
	v_mul_f64_e32 v[44:45], v[26:27], v[0:1]
	v_mul_f64_e32 v[52:53], 0.5, v[0:1]
	s_delay_alu instid0(VALU_DEP_3)
	v_fmac_f64_e32 v[28:29], v[46:47], v[32:33]
	s_clause 0x1
	global_load_b64 v[32:33], v4, s[10:11] scale_offset
	global_load_b64 v[46:47], v3, s[10:11] scale_offset
	;; [unrolled: 1-line block ×3, first 2 shown]
	v_fma_f64 v[0:1], -v[52:53], v[44:45], 0.5
	s_delay_alu instid0(VALU_DEP_1) | instskip(SKIP_1) | instid1(VALU_DEP_2)
	v_fmac_f64_e32 v[44:45], v[44:45], v[0:1]
	v_fmac_f64_e32 v[52:53], v[52:53], v[0:1]
	v_fma_f64 v[0:1], -v[44:45], v[44:45], v[26:27]
	s_wait_loadcnt 0xc
	v_add_f64_e32 v[40:41], v[74:75], v[76:77]
	s_delay_alu instid0(VALU_DEP_2) | instskip(SKIP_3) | instid1(VALU_DEP_3)
	v_fmac_f64_e32 v[44:45], v[0:1], v[52:53]
	v_cndmask_b32_e64 v0, 0, 0xffffff80, s2
	v_cndmask_b32_e64 v1, 0, 0xffffff80, s3
	v_cmp_class_f64_e64 s2, v[36:37], 0x260
	v_ldexp_f64 v[50:51], v[50:51], v0
	s_delay_alu instid0(VALU_DEP_3)
	v_ldexp_f64 v[28:29], v[28:29], v1
	v_mul_f64_e32 v[0:1], v[64:65], v[66:67]
	s_clause 0x1
	global_load_b64 v[64:65], v3, s[8:9] scale_offset
	global_load_b64 v[2:3], v3, s[12:13] scale_offset
	v_add_f64_e32 v[66:67], v[34:35], v[54:55]
	s_load_b256 s[4:11], s[0:1], 0x40
	v_dual_fma_f64 v[90:91], -v[44:45], v[44:45], v[26:27] :: v_dual_cndmask_b32 v43, v51, v43, vcc_lo
	v_cndmask_b32_e32 v42, v50, v42, vcc_lo
	v_add_f64_e32 v[50:51], v[58:59], v[60:61]
	v_cmp_class_f64_e64 vcc_lo, v[26:27], 0x260
	v_dual_cndmask_b32 v29, v29, v37, s2 :: v_dual_cndmask_b32 v28, v28, v36, s2
	v_add_f64_e32 v[36:37], v[62:63], v[70:71]
	s_wait_loadcnt 0xd
	v_add_f64_e32 v[66:67], v[66:67], v[48:49]
	s_wait_loadcnt 0xc
	v_add_f64_e32 v[40:41], v[40:41], v[80:81]
	v_fmac_f64_e32 v[44:45], v[90:91], v[52:53]
	v_add_f64_e32 v[52:53], v[56:57], v[58:59]
	v_add_f64_e32 v[90:91], v[72:73], v[74:75]
	s_wait_loadcnt 0x7
	v_add_f64_e32 v[92:93], v[88:89], v[6:7]
	v_add_f64_e32 v[36:37], v[36:37], v[80:81]
	s_wait_loadcnt 0x6
	v_add_f64_e32 v[56:57], v[78:79], v[56:57]
	v_add_f64_e32 v[78:79], v[78:79], v[60:61]
	v_ldexp_f64 v[44:45], v[44:45], v69
	v_add_f64_e32 v[52:53], v[52:53], v[48:49]
	v_add_f64_e32 v[90:91], v[90:91], v[80:81]
	;; [unrolled: 1-line block ×7, first 2 shown]
	v_dual_cndmask_b32 v27, v45, v27 :: v_dual_cndmask_b32 v26, v44, v26
	v_div_scale_f64 v[44:45], null, v[28:29], v[28:29], v[0:1]
	v_add_f64_e32 v[52:53], v[54:55], v[52:53]
	v_add_f64_e32 v[58:59], v[58:59], v[60:61]
	v_div_scale_f64 v[60:61], null, v[42:43], v[42:43], v[0:1]
	s_wait_loadcnt 0x5
	v_add_f64_e32 v[50:51], v[50:51], v[30:31]
	v_add_f64_e32 v[80:81], v[80:81], v[30:31]
	;; [unrolled: 1-line block ×3, first 2 shown]
	s_wait_loadcnt 0x4
	v_add_f64_e32 v[72:73], v[32:33], v[72:73]
	v_add_f64_e32 v[32:33], v[32:33], v[76:77]
	s_wait_loadcnt 0x3
	v_add_f64_e32 v[36:37], v[36:37], v[46:47]
	v_add_f64_e32 v[40:41], v[40:41], v[46:47]
	;; [unrolled: 3-line block ×3, first 2 shown]
	v_add_f64_e32 v[74:75], v[72:73], v[74:75]
	v_add_f64_e32 v[32:33], v[32:33], v[46:47]
	;; [unrolled: 1-line block ×4, first 2 shown]
	v_rcp_f64_e32 v[90:91], v[44:45]
	v_add_f64_e32 v[88:89], v[86:87], v[88:89]
	v_add_f64_e32 v[86:87], v[86:87], v[84:85]
	;; [unrolled: 1-line block ×3, first 2 shown]
	v_rcp_f64_e32 v[76:77], v[60:61]
	v_add_f64_e32 v[32:33], v[62:63], v[32:33]
	v_add_f64_e32 v[62:63], v[62:63], v[72:73]
	;; [unrolled: 1-line block ×3, first 2 shown]
	s_delay_alu instid0(TRANS32_DEP_2)
	v_fma_f64 v[46:47], -v[44:45], v[90:91], 1.0
	v_add_f64_e64 v[36:37], v[36:37], -v[74:75]
	v_add_f64_e64 v[32:33], v[70:71], -v[32:33]
	;; [unrolled: 1-line block ×3, first 2 shown]
	v_div_scale_f64 v[62:63], vcc_lo, v[0:1], v[42:43], v[0:1]
	v_add_f64_e32 v[70:71], v[82:83], v[86:87]
	s_delay_alu instid0(TRANS32_DEP_1)
	v_fma_f64 v[72:73], -v[60:61], v[76:77], 1.0
	v_fmac_f64_e32 v[90:91], v[90:91], v[46:47]
	s_wait_loadcnt 0x1
	v_add_f64_e32 v[78:79], v[78:79], v[64:65]
	s_wait_loadcnt 0x0
	v_add_f64_e32 v[4:5], v[4:5], v[2:3]
	v_add_f64_e32 v[66:67], v[66:67], v[64:65]
	;; [unrolled: 1-line block ×6, first 2 shown]
	v_ldexp_f64 v[36:37], v[36:37], -2
	v_ldexp_f64 v[32:33], v[32:33], -2
	v_ldexp_f64 v[40:41], -v[40:41], -2
	v_fmac_f64_e32 v[76:77], v[76:77], v[72:73]
	v_div_scale_f64 v[72:73], null, v[26:27], v[26:27], v[0:1]
	v_add_f64_e32 v[78:79], v[34:35], v[78:79]
	v_add_f64_e32 v[34:35], v[34:35], v[56:57]
	v_fma_f64 v[56:57], -v[44:45], v[90:91], 1.0
	v_add_f64_e32 v[4:5], v[82:83], v[4:5]
	v_add_f64_e64 v[30:31], v[66:67], -v[58:59]
	v_add_f64_e64 v[6:7], v[50:51], -v[6:7]
	;; [unrolled: 1-line block ×3, first 2 shown]
	v_mul_f64_e32 v[16:17], v[36:37], v[16:17]
	v_mul_f64_e32 v[18:19], v[32:33], v[18:19]
	v_mul_f64_e32 v[24:25], v[40:41], v[24:25]
	v_fma_f64 v[54:55], -v[60:61], v[76:77], 1.0
	v_rcp_f64_e32 v[46:47], v[72:73]
	v_add_f64_e64 v[52:53], v[52:53], -v[78:79]
	v_add_f64_e64 v[34:35], v[34:35], -v[48:49]
	v_fmac_f64_e32 v[90:91], v[90:91], v[56:57]
	v_div_scale_f64 v[56:57], s3, v[0:1], v[26:27], v[0:1]
	v_add_f64_e64 v[4:5], v[64:65], -v[4:5]
	v_ldexp_f64 v[30:31], v[30:31], -2
	v_ldexp_f64 v[6:7], v[6:7], -2
	v_ldexp_f64 v[2:3], -v[2:3], -2
	v_fmac_f64_e32 v[76:77], v[76:77], v[54:55]
	v_div_scale_f64 v[54:55], s2, v[0:1], v[28:29], v[0:1]
	s_delay_alu instid0(TRANS32_DEP_1)
	v_fma_f64 v[92:93], -v[72:73], v[46:47], 1.0
	v_ldexp_f64 v[50:51], v[52:53], -2
	v_ldexp_f64 v[34:35], -v[34:35], -2
	v_ldexp_f64 v[4:5], v[4:5], -2
	v_fmac_f64_e32 v[16:17], v[30:31], v[12:13]
	v_mul_f64_e32 v[58:59], v[62:63], v[76:77]
	v_mul_f64_e32 v[66:67], v[54:55], v[90:91]
	v_fmac_f64_e32 v[46:47], v[46:47], v[92:93]
	v_fmac_f64_e32 v[18:19], v[50:51], v[14:15]
	;; [unrolled: 1-line block ×4, first 2 shown]
	v_fma_f64 v[32:33], -v[60:61], v[58:59], v[62:63]
	v_fma_f64 v[36:37], -v[44:45], v[66:67], v[54:55]
	v_fma_f64 v[74:75], -v[72:73], v[46:47], 1.0
	v_fmac_f64_e32 v[18:19], v[4:5], v[10:11]
	v_fmac_f64_e32 v[24:25], v[2:3], v[20:21]
	v_div_fmas_f64 v[12:13], v[32:33], v[76:77], v[58:59]
	s_mov_b32 vcc_lo, s2
	v_div_fmas_f64 v[14:15], v[36:37], v[90:91], v[66:67]
	s_mov_b32 vcc_lo, s3
	v_fmac_f64_e32 v[46:47], v[46:47], v[74:75]
	s_delay_alu instid0(VALU_DEP_3) | instskip(NEXT) | instid1(VALU_DEP_3)
	v_div_fixup_f64 v[4:5], v[12:13], v[42:43], v[0:1]
	v_div_fixup_f64 v[6:7], v[14:15], v[28:29], v[0:1]
	s_delay_alu instid0(VALU_DEP_3) | instskip(NEXT) | instid1(VALU_DEP_1)
	v_mul_f64_e32 v[48:49], v[56:57], v[46:47]
	v_fma_f64 v[44:45], -v[72:73], v[48:49], v[56:57]
	s_delay_alu instid0(VALU_DEP_1) | instskip(NEXT) | instid1(VALU_DEP_1)
	v_div_fmas_f64 v[30:31], v[44:45], v[46:47], v[48:49]
	v_div_fixup_f64 v[0:1], v[30:31], v[26:27], v[0:1]
	s_wait_kmcnt 0x0
	s_clause 0x5
	global_store_b64 v68, v[18:19], s[16:17] scale_offset
	global_store_b64 v68, v[16:17], s[8:9] scale_offset
	;; [unrolled: 1-line block ×6, first 2 shown]
.LBB12_2:
	s_sendmsg sendmsg(MSG_DEALLOC_VGPRS)
	s_endpgm
	.section	.rodata,"a",@progbits
	.p2align	6, 0x0
	.amdhsa_kernel _Z31calcMonotonicQGradientsForElemsPKdS0_S0_S0_S0_S0_PKiS0_PdS3_S3_S3_S3_S3_S0_i
		.amdhsa_group_segment_fixed_size 0
		.amdhsa_private_segment_fixed_size 0
		.amdhsa_kernarg_size 384
		.amdhsa_user_sgpr_count 2
		.amdhsa_user_sgpr_dispatch_ptr 0
		.amdhsa_user_sgpr_queue_ptr 0
		.amdhsa_user_sgpr_kernarg_segment_ptr 1
		.amdhsa_user_sgpr_dispatch_id 0
		.amdhsa_user_sgpr_kernarg_preload_length 0
		.amdhsa_user_sgpr_kernarg_preload_offset 0
		.amdhsa_user_sgpr_private_segment_size 0
		.amdhsa_wavefront_size32 1
		.amdhsa_uses_dynamic_stack 0
		.amdhsa_enable_private_segment 0
		.amdhsa_system_sgpr_workgroup_id_x 1
		.amdhsa_system_sgpr_workgroup_id_y 0
		.amdhsa_system_sgpr_workgroup_id_z 0
		.amdhsa_system_sgpr_workgroup_info 0
		.amdhsa_system_vgpr_workitem_id 0
		.amdhsa_next_free_vgpr 94
		.amdhsa_next_free_sgpr 24
		.amdhsa_named_barrier_count 0
		.amdhsa_reserve_vcc 1
		.amdhsa_float_round_mode_32 0
		.amdhsa_float_round_mode_16_64 0
		.amdhsa_float_denorm_mode_32 3
		.amdhsa_float_denorm_mode_16_64 3
		.amdhsa_fp16_overflow 0
		.amdhsa_memory_ordered 1
		.amdhsa_forward_progress 1
		.amdhsa_inst_pref_size 22
		.amdhsa_round_robin_scheduling 0
		.amdhsa_exception_fp_ieee_invalid_op 0
		.amdhsa_exception_fp_denorm_src 0
		.amdhsa_exception_fp_ieee_div_zero 0
		.amdhsa_exception_fp_ieee_overflow 0
		.amdhsa_exception_fp_ieee_underflow 0
		.amdhsa_exception_fp_ieee_inexact 0
		.amdhsa_exception_int_div_zero 0
	.end_amdhsa_kernel
	.text
.Lfunc_end12:
	.size	_Z31calcMonotonicQGradientsForElemsPKdS0_S0_S0_S0_S0_PKiS0_PdS3_S3_S3_S3_S3_S0_i, .Lfunc_end12-_Z31calcMonotonicQGradientsForElemsPKdS0_S0_S0_S0_S0_PKiS0_PdS3_S3_S3_S3_S3_S0_i
                                        ; -- End function
	.set _Z31calcMonotonicQGradientsForElemsPKdS0_S0_S0_S0_S0_PKiS0_PdS3_S3_S3_S3_S3_S0_i.num_vgpr, 94
	.set _Z31calcMonotonicQGradientsForElemsPKdS0_S0_S0_S0_S0_PKiS0_PdS3_S3_S3_S3_S3_S0_i.num_agpr, 0
	.set _Z31calcMonotonicQGradientsForElemsPKdS0_S0_S0_S0_S0_PKiS0_PdS3_S3_S3_S3_S3_S0_i.numbered_sgpr, 24
	.set _Z31calcMonotonicQGradientsForElemsPKdS0_S0_S0_S0_S0_PKiS0_PdS3_S3_S3_S3_S3_S0_i.num_named_barrier, 0
	.set _Z31calcMonotonicQGradientsForElemsPKdS0_S0_S0_S0_S0_PKiS0_PdS3_S3_S3_S3_S3_S0_i.private_seg_size, 0
	.set _Z31calcMonotonicQGradientsForElemsPKdS0_S0_S0_S0_S0_PKiS0_PdS3_S3_S3_S3_S3_S0_i.uses_vcc, 1
	.set _Z31calcMonotonicQGradientsForElemsPKdS0_S0_S0_S0_S0_PKiS0_PdS3_S3_S3_S3_S3_S0_i.uses_flat_scratch, 0
	.set _Z31calcMonotonicQGradientsForElemsPKdS0_S0_S0_S0_S0_PKiS0_PdS3_S3_S3_S3_S3_S0_i.has_dyn_sized_stack, 0
	.set _Z31calcMonotonicQGradientsForElemsPKdS0_S0_S0_S0_S0_PKiS0_PdS3_S3_S3_S3_S3_S0_i.has_recursion, 0
	.set _Z31calcMonotonicQGradientsForElemsPKdS0_S0_S0_S0_S0_PKiS0_PdS3_S3_S3_S3_S3_S0_i.has_indirect_call, 0
	.section	.AMDGPU.csdata,"",@progbits
; Kernel info:
; codeLenInByte = 2784
; TotalNumSgprs: 26
; NumVgprs: 94
; ScratchSize: 0
; MemoryBound: 0
; FloatMode: 240
; IeeeMode: 1
; LDSByteSize: 0 bytes/workgroup (compile time only)
; SGPRBlocks: 0
; VGPRBlocks: 5
; NumSGPRsForWavesPerEU: 26
; NumVGPRsForWavesPerEU: 94
; NamedBarCnt: 0
; Occupancy: 10
; WaveLimiterHint : 0
; COMPUTE_PGM_RSRC2:SCRATCH_EN: 0
; COMPUTE_PGM_RSRC2:USER_SGPR: 2
; COMPUTE_PGM_RSRC2:TRAP_HANDLER: 0
; COMPUTE_PGM_RSRC2:TGID_X_EN: 1
; COMPUTE_PGM_RSRC2:TGID_Y_EN: 0
; COMPUTE_PGM_RSRC2:TGID_Z_EN: 0
; COMPUTE_PGM_RSRC2:TIDIG_COMP_CNT: 0
	.text
	.protected	_Z22calcMonotonicQForElemsPKiPKdPdS3_S2_S2_S2_S2_S2_S2_S2_S2_S0_S0_S0_S0_S0_S0_S2_ddddi ; -- Begin function _Z22calcMonotonicQForElemsPKiPKdPdS3_S2_S2_S2_S2_S2_S2_S2_S2_S0_S0_S0_S0_S0_S0_S2_ddddi
	.globl	_Z22calcMonotonicQForElemsPKiPKdPdS3_S2_S2_S2_S2_S2_S2_S2_S2_S0_S0_S0_S0_S0_S0_S2_ddddi
	.p2align	8
	.type	_Z22calcMonotonicQForElemsPKiPKdPdS3_S2_S2_S2_S2_S2_S2_S2_S2_S0_S0_S0_S0_S0_S0_S2_ddddi,@function
_Z22calcMonotonicQForElemsPKiPKdPdS3_S2_S2_S2_S2_S2_S2_S2_S2_S0_S0_S0_S0_S0_S0_S2_ddddi: ; @_Z22calcMonotonicQForElemsPKiPKdPdS3_S2_S2_S2_S2_S2_S2_S2_S2_S0_S0_S0_S0_S0_S0_S2_ddddi
; %bb.0:
	s_clause 0x1
	s_load_b32 s2, s[0:1], 0xcc
	s_load_b32 s3, s[0:1], 0xb8
	s_bfe_u32 s4, ttmp6, 0x4000c
	s_and_b32 s5, ttmp6, 15
	s_add_co_i32 s4, s4, 1
	s_getreg_b32 s6, hwreg(HW_REG_IB_STS2, 6, 4)
	s_mul_i32 s4, ttmp9, s4
	s_delay_alu instid0(SALU_CYCLE_1) | instskip(SKIP_4) | instid1(SALU_CYCLE_1)
	s_add_co_i32 s5, s5, s4
	s_wait_kmcnt 0x0
	s_and_b32 s2, s2, 0xffff
	s_cmp_eq_u32 s6, 0
	s_cselect_b32 s4, ttmp9, s5
	v_mad_u32 v8, s4, s2, v0
	s_mov_b32 s2, exec_lo
	s_delay_alu instid0(VALU_DEP_1)
	v_cmpx_gt_i32_e64 s3, v8
	s_cbranch_execz .LBB13_64
; %bb.1:
	s_clause 0x5
	s_load_b64 s[2:3], s[0:1], 0x90
	s_load_b128 s[28:31], s[0:1], 0x80
	s_load_b256 s[36:43], s[0:1], 0x60
	s_load_b256 s[12:19], s[0:1], 0x40
	;; [unrolled: 1-line block ×4, first 2 shown]
	s_mov_b32 s33, 0
                                        ; implicit-def: $vgpr2_vgpr3
	s_wait_kmcnt 0x0
	s_clause 0x1
	global_load_b32 v18, v8, s[4:5] scale_offset
	global_load_b64 v[0:1], v8, s[16:17] scale_offset
	s_wait_xcnt 0x1
	s_mov_b32 s5, -1
	s_mov_b32 s4, exec_lo
	s_wait_loadcnt 0x1
	v_dual_ashrrev_i32 v9, 31, v8 :: v_dual_bitop2_b32 v4, 7, v18 bitop3:0x40
	s_wait_xcnt 0x0
	s_delay_alu instid0(VALU_DEP_1)
	v_cmpx_lt_i32_e32 0, v4
	s_cbranch_execz .LBB13_9
; %bb.2:
	s_mov_b32 s5, 0
	s_mov_b32 s34, exec_lo
	v_cmpx_lt_i32_e32 3, v4
	s_xor_b32 s34, exec_lo, s34
; %bb.3:
	v_cmp_ne_u32_e32 vcc_lo, 4, v4
	s_mov_b32 s5, exec_lo
                                        ; implicit-def: $vgpr4
	s_and_b32 s33, vcc_lo, exec_lo
; %bb.4:
	s_and_not1_saveexec_b32 s34, s34
; %bb.5:
	v_cmp_ne_u32_e32 vcc_lo, 1, v4
	s_and_not1_b32 s33, s33, exec_lo
	s_and_b32 s35, vcc_lo, exec_lo
	s_delay_alu instid0(SALU_CYCLE_1)
	s_or_b32 s33, s33, s35
; %bb.6:
	s_or_b32 exec_lo, exec_lo, s34
	s_wait_loadcnt 0x0
	v_mov_b64_e32 v[2:3], v[0:1]
	s_and_saveexec_b32 s34, s33
	s_delay_alu instid0(SALU_CYCLE_1)
	s_xor_b32 s33, exec_lo, s34
; %bb.7:
	v_mov_b64_e32 v[2:3], 0
	s_and_not1_b32 s5, s5, exec_lo
; %bb.8:
	s_or_b32 exec_lo, exec_lo, s33
	s_delay_alu instid0(SALU_CYCLE_1)
	s_or_not1_b32 s5, s5, exec_lo
.LBB13_9:
	s_or_b32 exec_lo, exec_lo, s4
	s_and_saveexec_b32 s4, s5
	s_cbranch_execz .LBB13_11
; %bb.10:
	v_lshl_add_u64 v[2:3], v[8:9], 2, s[36:37]
	global_load_b32 v2, v[2:3], off
	s_wait_loadcnt 0x0
	global_load_b64 v[2:3], v2, s[16:17] scale_offset
.LBB13_11:
	s_wait_xcnt 0x0
	s_or_b32 exec_lo, exec_lo, s4
	v_bfe_u32 v6, v18, 3, 3
	s_mov_b32 s5, 0
	s_mov_b32 s33, -1
	s_mov_b32 s4, exec_lo
                                        ; implicit-def: $vgpr4_vgpr5
	s_delay_alu instid0(VALU_DEP_1)
	v_cmpx_lt_i32_e32 0, v6
	s_cbranch_execz .LBB13_19
; %bb.12:
	s_mov_b32 s33, exec_lo
	v_cmpx_lt_i32_e32 3, v6
	s_xor_b32 s33, exec_lo, s33
; %bb.13:
	v_cmp_eq_u32_e32 vcc_lo, 4, v6
                                        ; implicit-def: $vgpr6
	s_and_b32 s5, vcc_lo, exec_lo
; %bb.14:
	s_or_saveexec_b32 s33, s33
	v_mov_b64_e32 v[4:5], 0
	s_xor_b32 exec_lo, exec_lo, s33
	s_cbranch_execz .LBB13_18
; %bb.15:
	v_mov_b64_e32 v[4:5], 0
	s_mov_b32 s34, exec_lo
	v_cmpx_eq_u32_e32 1, v6
	s_cbranch_execz .LBB13_17
; %bb.16:
	s_wait_loadcnt 0x0
	v_mov_b64_e32 v[4:5], v[0:1]
.LBB13_17:
	s_or_b32 exec_lo, exec_lo, s34
.LBB13_18:
	s_delay_alu instid0(SALU_CYCLE_1) | instskip(NEXT) | instid1(SALU_CYCLE_1)
	s_or_b32 exec_lo, exec_lo, s33
	s_or_not1_b32 s33, s5, exec_lo
.LBB13_19:
	s_or_b32 exec_lo, exec_lo, s4
	s_and_saveexec_b32 s4, s33
	s_cbranch_execz .LBB13_21
; %bb.20:
	v_lshl_add_u64 v[4:5], v[8:9], 2, s[38:39]
	global_load_b32 v4, v[4:5], off
	s_wait_loadcnt 0x0
	global_load_b64 v[4:5], v4, s[16:17] scale_offset
.LBB13_21:
	s_wait_xcnt 0x0
	s_or_b32 exec_lo, exec_lo, s4
	v_lshl_add_u64 v[6:7], v[8:9], 3, s[24:25]
	v_bfe_u32 v12, v18, 6, 3
	s_mov_b32 s16, 0
	s_mov_b32 s5, -1
	s_mov_b32 s4, exec_lo
	global_load_b64 v[6:7], v[6:7], off
                                        ; implicit-def: $vgpr10_vgpr11
	s_wait_xcnt 0x0
	v_cmpx_lt_i32_e32 0, v12
	s_cbranch_execz .LBB13_29
; %bb.22:
	s_mov_b32 s5, 0
	s_mov_b32 s17, exec_lo
	v_cmpx_lt_i32_e32 3, v12
	s_xor_b32 s17, exec_lo, s17
; %bb.23:
	v_cmp_ne_u32_e32 vcc_lo, 4, v12
	s_mov_b32 s5, exec_lo
                                        ; implicit-def: $vgpr12
	s_and_b32 s16, vcc_lo, exec_lo
; %bb.24:
	s_and_not1_saveexec_b32 s17, s17
; %bb.25:
	v_cmp_ne_u32_e32 vcc_lo, 1, v12
	s_and_not1_b32 s16, s16, exec_lo
	s_and_b32 s33, vcc_lo, exec_lo
	s_delay_alu instid0(SALU_CYCLE_1)
	s_or_b32 s16, s16, s33
; %bb.26:
	s_or_b32 exec_lo, exec_lo, s17
	s_wait_loadcnt 0x0
	v_mov_b64_e32 v[10:11], v[6:7]
	s_and_saveexec_b32 s17, s16
	s_delay_alu instid0(SALU_CYCLE_1)
	s_xor_b32 s16, exec_lo, s17
; %bb.27:
	v_mov_b64_e32 v[10:11], 0
	s_and_not1_b32 s5, s5, exec_lo
; %bb.28:
	s_or_b32 exec_lo, exec_lo, s16
	s_delay_alu instid0(SALU_CYCLE_1)
	s_or_not1_b32 s5, s5, exec_lo
.LBB13_29:
	s_or_b32 exec_lo, exec_lo, s4
	s_and_saveexec_b32 s4, s5
	s_cbranch_execz .LBB13_31
; %bb.30:
	v_lshl_add_u64 v[10:11], v[8:9], 2, s[30:31]
	global_load_b32 v10, v[10:11], off
	s_wait_loadcnt 0x0
	global_load_b64 v[10:11], v10, s[24:25] scale_offset
.LBB13_31:
	s_wait_xcnt 0x0
	s_or_b32 exec_lo, exec_lo, s4
	v_bfe_u32 v12, v18, 9, 3
	s_mov_b32 s5, 0
	s_mov_b32 s16, -1
	s_mov_b32 s4, exec_lo
                                        ; implicit-def: $vgpr14_vgpr15
	s_delay_alu instid0(VALU_DEP_1)
	v_cmpx_lt_i32_e32 0, v12
	s_cbranch_execz .LBB13_39
; %bb.32:
	s_mov_b32 s16, exec_lo
	v_cmpx_lt_i32_e32 3, v12
	s_xor_b32 s16, exec_lo, s16
; %bb.33:
	v_cmp_eq_u32_e32 vcc_lo, 4, v12
                                        ; implicit-def: $vgpr12
	s_and_b32 s5, vcc_lo, exec_lo
; %bb.34:
	s_or_saveexec_b32 s16, s16
	v_mov_b64_e32 v[14:15], 0
	s_xor_b32 exec_lo, exec_lo, s16
	s_cbranch_execz .LBB13_38
; %bb.35:
	v_mov_b64_e32 v[14:15], 0
	s_mov_b32 s17, exec_lo
	v_cmpx_eq_u32_e32 1, v12
	s_cbranch_execz .LBB13_37
; %bb.36:
	s_wait_loadcnt 0x0
	v_mov_b64_e32 v[14:15], v[6:7]
.LBB13_37:
	s_or_b32 exec_lo, exec_lo, s17
.LBB13_38:
	s_delay_alu instid0(SALU_CYCLE_1) | instskip(NEXT) | instid1(SALU_CYCLE_1)
	s_or_b32 exec_lo, exec_lo, s16
	s_or_not1_b32 s16, s5, exec_lo
.LBB13_39:
	s_or_b32 exec_lo, exec_lo, s4
	s_and_saveexec_b32 s4, s16
	s_cbranch_execz .LBB13_41
; %bb.40:
	v_lshl_add_u64 v[12:13], v[8:9], 2, s[28:29]
	global_load_b32 v12, v[12:13], off
	s_wait_loadcnt 0x0
	global_load_b64 v[14:15], v12, s[24:25] scale_offset
.LBB13_41:
	s_wait_xcnt 0x0
	s_or_b32 exec_lo, exec_lo, s4
	v_lshl_add_u64 v[12:13], v[8:9], 3, s[12:13]
	v_bfe_u32 v19, v18, 12, 3
	s_mov_b32 s16, 0
	s_mov_b32 s5, -1
	s_mov_b32 s4, exec_lo
	global_load_b64 v[12:13], v[12:13], off
                                        ; implicit-def: $vgpr16_vgpr17
	s_wait_xcnt 0x0
	v_cmpx_lt_i32_e32 0, v19
	s_cbranch_execz .LBB13_49
; %bb.42:
	s_mov_b32 s5, 0
	s_mov_b32 s17, exec_lo
	v_cmpx_lt_i32_e32 3, v19
	s_xor_b32 s17, exec_lo, s17
; %bb.43:
	v_cmp_ne_u32_e32 vcc_lo, 4, v19
	s_mov_b32 s5, exec_lo
                                        ; implicit-def: $vgpr19
	s_and_b32 s16, vcc_lo, exec_lo
; %bb.44:
	s_and_not1_saveexec_b32 s17, s17
; %bb.45:
	v_cmp_ne_u32_e32 vcc_lo, 1, v19
	s_and_not1_b32 s16, s16, exec_lo
	s_and_b32 s24, vcc_lo, exec_lo
	s_delay_alu instid0(SALU_CYCLE_1)
	s_or_b32 s16, s16, s24
; %bb.46:
	s_or_b32 exec_lo, exec_lo, s17
	s_wait_loadcnt 0x0
	v_mov_b64_e32 v[16:17], v[12:13]
	s_and_saveexec_b32 s17, s16
	s_delay_alu instid0(SALU_CYCLE_1)
	s_xor_b32 s16, exec_lo, s17
; %bb.47:
	v_mov_b64_e32 v[16:17], 0
	s_and_not1_b32 s5, s5, exec_lo
; %bb.48:
	s_or_b32 exec_lo, exec_lo, s16
	s_delay_alu instid0(SALU_CYCLE_1)
	s_or_not1_b32 s5, s5, exec_lo
.LBB13_49:
	s_or_b32 exec_lo, exec_lo, s4
	s_and_saveexec_b32 s4, s5
	s_cbranch_execz .LBB13_51
; %bb.50:
	v_lshl_add_u64 v[16:17], v[8:9], 2, s[40:41]
	global_load_b32 v16, v[16:17], off
	s_wait_loadcnt 0x0
	global_load_b64 v[16:17], v16, s[12:13] scale_offset
.LBB13_51:
	s_wait_xcnt 0x0
	s_or_b32 exec_lo, exec_lo, s4
	v_bfe_u32 v20, v18, 15, 3
	s_mov_b32 s5, 0
	s_mov_b32 s16, -1
	s_mov_b32 s4, exec_lo
                                        ; implicit-def: $vgpr18_vgpr19
	s_delay_alu instid0(VALU_DEP_1)
	v_cmpx_lt_i32_e32 0, v20
	s_cbranch_execz .LBB13_59
; %bb.52:
	s_mov_b32 s16, exec_lo
	v_cmpx_lt_i32_e32 3, v20
	s_xor_b32 s16, exec_lo, s16
; %bb.53:
	v_cmp_eq_u32_e32 vcc_lo, 4, v20
                                        ; implicit-def: $vgpr20
	s_and_b32 s5, vcc_lo, exec_lo
; %bb.54:
	s_or_saveexec_b32 s16, s16
	v_mov_b64_e32 v[18:19], 0
	s_xor_b32 exec_lo, exec_lo, s16
	s_cbranch_execz .LBB13_58
; %bb.55:
	v_mov_b64_e32 v[18:19], 0
	s_mov_b32 s17, exec_lo
	v_cmpx_eq_u32_e32 1, v20
	s_cbranch_execz .LBB13_57
; %bb.56:
	s_wait_loadcnt 0x0
	v_mov_b64_e32 v[18:19], v[12:13]
.LBB13_57:
	s_or_b32 exec_lo, exec_lo, s17
.LBB13_58:
	s_delay_alu instid0(SALU_CYCLE_1) | instskip(NEXT) | instid1(SALU_CYCLE_1)
	s_or_b32 exec_lo, exec_lo, s16
	s_or_not1_b32 s16, s5, exec_lo
.LBB13_59:
	s_or_b32 exec_lo, exec_lo, s4
	s_and_saveexec_b32 s4, s16
	s_cbranch_execz .LBB13_61
; %bb.60:
	v_lshl_add_u64 v[18:19], v[8:9], 2, s[42:43]
	global_load_b32 v18, v[18:19], off
	s_wait_loadcnt 0x0
	global_load_b64 v[18:19], v18, s[12:13] scale_offset
.LBB13_61:
	s_wait_xcnt 0x0
	s_or_b32 exec_lo, exec_lo, s4
	v_lshl_add_u64 v[20:21], v[8:9], 3, s[20:21]
	v_lshlrev_b64_e32 v[8:9], 3, v[8:9]
	v_mov_b64_e32 v[22:23], 0
	global_load_b64 v[20:21], v[20:21], off
	s_wait_loadcnt 0x0
	v_cmp_nlt_f64_e32 vcc_lo, 0, v[20:21]
	v_mov_b64_e32 v[20:21], 0
	s_and_saveexec_b32 s5, vcc_lo
	s_cbranch_execz .LBB13_63
; %bb.62:
	v_add_f64_e32 v[20:21], 0x38754484932d2e72, v[6:7]
	v_add_nc_u64_e32 v[22:23], s[22:23], v[8:9]
	v_add_f64_e32 v[30:31], 0x38754484932d2e72, v[0:1]
	v_add_nc_u64_e32 v[24:25], s[2:3], v[8:9]
	v_add_nc_u64_e32 v[54:55], s[18:19], v[8:9]
	global_load_b64 v[26:27], v[22:23], off
	global_load_b64 v[28:29], v[24:25], off
	s_wait_xcnt 0x0
	v_add_f64_e32 v[24:25], 0x38754484932d2e72, v[12:13]
	global_load_b64 v[54:55], v[54:55], off
	v_add_nc_u64_e32 v[22:23], s[6:7], v[8:9]
	global_load_b64 v[22:23], v[22:23], off
	v_div_scale_f64 v[32:33], null, v[20:21], v[20:21], 1.0
	v_div_scale_f64 v[36:37], null, v[30:31], v[30:31], 1.0
	;; [unrolled: 1-line block ×3, first 2 shown]
	v_div_scale_f64 v[52:53], s2, 1.0, v[24:25], 1.0
	s_delay_alu instid0(VALU_DEP_4) | instskip(NEXT) | instid1(VALU_DEP_3)
	v_rcp_f64_e32 v[38:39], v[32:33]
	v_rcp_f64_e32 v[42:43], v[36:37]
	s_delay_alu instid0(VALU_DEP_2) | instskip(NEXT) | instid1(TRANS32_DEP_3)
	v_rcp_f64_e32 v[40:41], v[34:35]
	v_fma_f64 v[44:45], -v[32:33], v[38:39], 1.0
	s_delay_alu instid0(TRANS32_DEP_2) | instskip(NEXT) | instid1(TRANS32_DEP_1)
	v_fma_f64 v[48:49], -v[36:37], v[42:43], 1.0
	v_fma_f64 v[46:47], -v[34:35], v[40:41], 1.0
	s_delay_alu instid0(VALU_DEP_3) | instskip(NEXT) | instid1(VALU_DEP_3)
	v_fmac_f64_e32 v[38:39], v[38:39], v[44:45]
	v_fmac_f64_e32 v[42:43], v[42:43], v[48:49]
	v_div_scale_f64 v[48:49], vcc_lo, 1.0, v[20:21], 1.0
	s_delay_alu instid0(VALU_DEP_4) | instskip(NEXT) | instid1(VALU_DEP_4)
	v_fmac_f64_e32 v[40:41], v[40:41], v[46:47]
	v_fma_f64 v[44:45], -v[32:33], v[38:39], 1.0
	s_delay_alu instid0(VALU_DEP_4) | instskip(NEXT) | instid1(VALU_DEP_3)
	v_fma_f64 v[50:51], -v[36:37], v[42:43], 1.0
	v_fma_f64 v[46:47], -v[34:35], v[40:41], 1.0
	s_delay_alu instid0(VALU_DEP_3) | instskip(SKIP_1) | instid1(VALU_DEP_4)
	v_fmac_f64_e32 v[38:39], v[38:39], v[44:45]
	v_add_nc_u64_e32 v[44:45], s[26:27], v[8:9]
	v_fmac_f64_e32 v[42:43], v[42:43], v[50:51]
	global_load_b64 v[44:45], v[44:45], off
	v_fmac_f64_e32 v[40:41], v[40:41], v[46:47]
	v_div_scale_f64 v[46:47], s3, 1.0, v[30:31], 1.0
	v_mul_f64_e32 v[50:51], v[48:49], v[38:39]
	s_delay_alu instid0(VALU_DEP_3) | instskip(NEXT) | instid1(VALU_DEP_2)
	v_mul_f64_e32 v[56:57], v[52:53], v[40:41]
	v_fma_f64 v[32:33], -v[32:33], v[50:51], v[48:49]
	v_add_nc_u64_e32 v[48:49], s[14:15], v[8:9]
	s_load_b256 s[12:19], s[0:1], 0x98
	global_load_b64 v[48:49], v[48:49], off
	v_fma_f64 v[34:35], -v[34:35], v[56:57], v[52:53]
	v_div_fmas_f64 v[32:33], v[32:33], v[38:39], v[50:51]
	s_mov_b32 vcc_lo, s2
	s_delay_alu instid0(VALU_DEP_2) | instskip(SKIP_1) | instid1(VALU_DEP_2)
	v_div_fmas_f64 v[34:35], v[34:35], v[40:41], v[56:57]
	s_mov_b32 vcc_lo, s3
	v_div_fixup_f64 v[20:21], v[32:33], v[20:21], 1.0
	s_wait_loadcnt 0x4
	v_mul_f64_e32 v[26:27], v[26:27], v[28:29]
	s_wait_loadcnt 0x3
	v_mul_f64_e32 v[0:1], v[0:1], v[54:55]
	v_mul_f64_e32 v[58:59], v[46:47], v[42:43]
	v_div_fixup_f64 v[24:25], v[34:35], v[24:25], 1.0
	s_delay_alu instid0(VALU_DEP_1) | instskip(SKIP_1) | instid1(VALU_DEP_1)
	v_mul_f64_e32 v[18:19], v[24:25], v[18:19]
	s_wait_kmcnt 0x0
	v_mul_f64_e32 v[38:39], s[12:13], v[18:19]
	v_fmac_f64_e32 v[18:19], v[24:25], v[16:17]
	s_delay_alu instid0(VALU_DEP_1) | instskip(SKIP_1) | instid1(VALU_DEP_1)
	v_mul_f64_e32 v[18:19], 0.5, v[18:19]
	v_fma_f64 v[36:37], -v[36:37], v[58:59], v[46:47]
	v_div_fmas_f64 v[36:37], v[36:37], v[42:43], v[58:59]
	s_delay_alu instid0(VALU_DEP_1) | instskip(SKIP_1) | instid1(VALU_DEP_2)
	v_div_fixup_f64 v[28:29], v[36:37], v[30:31], 1.0
	v_mul_f64_e32 v[36:37], v[24:25], v[16:17]
	v_mul_f64_e32 v[34:35], v[28:29], v[2:3]
	s_wait_loadcnt 0x0
	v_mul_f64_e32 v[12:13], v[12:13], v[48:49]
	s_delay_alu instid0(VALU_DEP_2) | instskip(SKIP_1) | instid1(VALU_DEP_1)
	v_mul_f64_e32 v[34:35], s[12:13], v[34:35]
	v_mul_f64_e32 v[4:5], v[28:29], v[4:5]
	v_fma_f64 v[2:3], v[28:29], v[2:3], v[4:5]
	s_delay_alu instid0(VALU_DEP_1) | instskip(NEXT) | instid1(VALU_DEP_1)
	v_mul_f64_e32 v[2:3], 0.5, v[2:3]
	v_cmp_lt_f64_e64 s0, v[34:35], v[2:3]
	s_delay_alu instid0(VALU_DEP_1) | instskip(SKIP_1) | instid1(VALU_DEP_1)
	v_dual_mul_f64 v[4:5], s[12:13], v[4:5] :: v_dual_cndmask_b32 v2, v2, v34, s0
	v_cndmask_b32_e64 v3, v3, v35, s0
	v_cmp_lt_f64_e64 s1, v[4:5], v[2:3]
	s_delay_alu instid0(VALU_DEP_1) | instskip(SKIP_2) | instid1(VALU_DEP_1)
	v_dual_mul_f64 v[32:33], v[20:21], v[10:11] :: v_dual_cndmask_b32 v3, v3, v5, s1
	v_mul_f64_e32 v[16:17], s[12:13], v[36:37]
	v_cndmask_b32_e64 v2, v2, v4, s1
	v_cmp_ngt_f64_e64 s1, 0, v[2:3]
	s_delay_alu instid0(VALU_DEP_3) | instskip(SKIP_1) | instid1(VALU_DEP_3)
	v_cmp_lt_f64_e64 s0, v[16:17], v[18:19]
	v_mul_f64_e32 v[14:15], v[20:21], v[14:15]
	v_dual_cndmask_b32 v3, 0, v3, s1 :: v_dual_cndmask_b32 v2, 0, v2, s1
	v_cmp_nlt_f64_e64 s1, 0, v[0:1]
	s_delay_alu instid0(VALU_DEP_2) | instskip(NEXT) | instid1(VALU_DEP_4)
	v_cmp_lt_f64_e64 s4, s[14:15], v[2:3]
	v_dual_fma_f64 v[10:11], v[20:21], v[10:11], v[14:15] :: v_dual_cndmask_b32 v16, v18, v16, s0
	v_mul_f64_e32 v[14:15], s[12:13], v[14:15]
	v_mul_f64_e32 v[28:29], s[12:13], v[32:33]
	v_cndmask_b32_e64 v17, v19, v17, s0
	v_cndmask_b32_e64 v1, 0, v1, s1
	s_delay_alu instid0(VALU_DEP_2)
	v_cmp_lt_f64_e64 s0, v[38:39], v[16:17]
	v_mul_f64_e32 v[6:7], v[6:7], v[44:45]
	v_cndmask_b32_e64 v0, 0, v0, s1
	v_cndmask_b32_e64 v3, v3, s15, s4
	;; [unrolled: 1-line block ×3, first 2 shown]
	v_mul_f64_e32 v[10:11], 0.5, v[10:11]
	v_dual_cndmask_b32 v16, v16, v38, s0 :: v_dual_cndmask_b32 v17, v17, v39, s0
	s_delay_alu instid0(VALU_DEP_1) | instskip(NEXT) | instid1(VALU_DEP_3)
	v_cmp_ngt_f64_e64 s0, 0, v[16:17]
	v_cmp_lt_f64_e32 vcc_lo, v[28:29], v[10:11]
	s_delay_alu instid0(VALU_DEP_2) | instskip(NEXT) | instid1(VALU_DEP_1)
	v_dual_cndmask_b32 v17, 0, v17, s0 :: v_dual_cndmask_b32 v16, 0, v16, s0
	v_cmp_lt_f64_e64 s0, s[14:15], v[16:17]
	v_dual_cndmask_b32 v11, v11, v29 :: v_dual_cndmask_b32 v10, v10, v28
	v_mul_f64_e32 v[28:29], v[0:1], v[0:1]
	s_delay_alu instid0(VALU_DEP_2) | instskip(SKIP_1) | instid1(VALU_DEP_1)
	v_cmp_lt_f64_e32 vcc_lo, v[14:15], v[10:11]
	v_dual_cndmask_b32 v11, v11, v15 :: v_dual_cndmask_b32 v10, v10, v14
	v_cmp_ngt_f64_e32 vcc_lo, 0, v[10:11]
	v_cndmask_b32_e32 v4, 0, v10, vcc_lo
	v_div_scale_f64 v[30:31], null, v[26:27], v[26:27], v[22:23]
	v_div_scale_f64 v[14:15], s2, v[22:23], v[26:27], v[22:23]
	v_cndmask_b32_e32 v5, 0, v11, vcc_lo
	v_cmp_nlt_f64_e32 vcc_lo, 0, v[6:7]
	s_delay_alu instid0(VALU_DEP_2)
	v_cmp_lt_f64_e64 s3, s[14:15], v[4:5]
	v_rcp_f64_e32 v[20:21], v[30:31]
	v_dual_cndmask_b32 v7, 0, v7 :: v_dual_cndmask_b32 v6, 0, v6
	s_mov_b32 vcc_lo, s2
	v_cndmask_b32_e64 v5, v5, s15, s3
	v_cndmask_b32_e64 v4, v4, s14, s3
	s_delay_alu instid0(VALU_DEP_3) | instskip(SKIP_1) | instid1(TRANS32_DEP_1)
	v_mul_f64_e32 v[18:19], v[6:7], v[6:7]
	v_cmp_nlt_f64_e64 s3, 0, v[12:13]
	v_fma_f64 v[32:33], -v[30:31], v[20:21], 1.0
	s_delay_alu instid0(VALU_DEP_2) | instskip(NEXT) | instid1(VALU_DEP_2)
	v_dual_cndmask_b32 v13, 0, v13, s3 :: v_dual_cndmask_b32 v12, 0, v12, s3
	v_fmac_f64_e32 v[20:21], v[20:21], v[32:33]
	s_delay_alu instid0(VALU_DEP_1) | instskip(NEXT) | instid1(VALU_DEP_1)
	v_fma_f64 v[24:25], -v[30:31], v[20:21], 1.0
	v_fmac_f64_e32 v[20:21], v[20:21], v[24:25]
	v_add_f64_e64 v[24:25], -v[4:5], 1.0
	v_fma_f64 v[4:5], -v[4:5], v[4:5], 1.0
	s_delay_alu instid0(VALU_DEP_3) | instskip(NEXT) | instid1(VALU_DEP_3)
	v_mul_f64_e32 v[10:11], v[14:15], v[20:21]
	v_mul_f64_e32 v[6:7], v[24:25], v[6:7]
	s_delay_alu instid0(VALU_DEP_3) | instskip(NEXT) | instid1(VALU_DEP_3)
	v_mul_f64_e32 v[4:5], v[4:5], v[18:19]
	v_fma_f64 v[14:15], -v[30:31], v[10:11], v[14:15]
	v_add_f64_e64 v[30:31], -v[2:3], 1.0
	v_fma_f64 v[2:3], -v[2:3], v[2:3], 1.0
	s_delay_alu instid0(VALU_DEP_3)
	v_div_fmas_f64 v[10:11], v[14:15], v[20:21], v[10:11]
	v_cndmask_b32_e64 v15, v17, s15, s0
	v_cndmask_b32_e64 v14, v16, s14, s0
	v_mul_f64_e32 v[16:17], v[12:13], v[12:13]
	v_fmac_f64_e32 v[6:7], v[30:31], v[0:1]
	v_fmac_f64_e32 v[4:5], v[2:3], v[28:29]
	s_delay_alu instid0(VALU_DEP_4) | instskip(SKIP_2) | instid1(VALU_DEP_3)
	v_add_f64_e64 v[18:19], -v[14:15], 1.0
	v_fma_f64 v[14:15], -v[14:15], v[14:15], 1.0
	v_div_fixup_f64 v[10:11], v[10:11], v[26:27], v[22:23]
	v_fmac_f64_e32 v[6:7], v[18:19], v[12:13]
	s_delay_alu instid0(VALU_DEP_3) | instskip(NEXT) | instid1(VALU_DEP_3)
	v_fmac_f64_e32 v[4:5], v[14:15], v[16:17]
	v_mul_f64_e64 v[0:1], v[10:11], -s[16:17]
	v_mul_f64_e32 v[2:3], s[18:19], v[10:11]
	s_delay_alu instid0(VALU_DEP_2) | instskip(NEXT) | instid1(VALU_DEP_2)
	v_mul_f64_e32 v[22:23], v[6:7], v[0:1]
	v_mul_f64_e32 v[20:21], v[2:3], v[4:5]
.LBB13_63:
	s_or_b32 exec_lo, exec_lo, s5
	v_add_nc_u64_e32 v[0:1], s[10:11], v[8:9]
	v_add_nc_u64_e32 v[2:3], s[8:9], v[8:9]
	global_store_b64 v[0:1], v[20:21], off
	global_store_b64 v[2:3], v[22:23], off
.LBB13_64:
	s_endpgm
	.section	.rodata,"a",@progbits
	.p2align	6, 0x0
	.amdhsa_kernel _Z22calcMonotonicQForElemsPKiPKdPdS3_S2_S2_S2_S2_S2_S2_S2_S2_S0_S0_S0_S0_S0_S0_S2_ddddi
		.amdhsa_group_segment_fixed_size 0
		.amdhsa_private_segment_fixed_size 0
		.amdhsa_kernarg_size 448
		.amdhsa_user_sgpr_count 2
		.amdhsa_user_sgpr_dispatch_ptr 0
		.amdhsa_user_sgpr_queue_ptr 0
		.amdhsa_user_sgpr_kernarg_segment_ptr 1
		.amdhsa_user_sgpr_dispatch_id 0
		.amdhsa_user_sgpr_kernarg_preload_length 0
		.amdhsa_user_sgpr_kernarg_preload_offset 0
		.amdhsa_user_sgpr_private_segment_size 0
		.amdhsa_wavefront_size32 1
		.amdhsa_uses_dynamic_stack 0
		.amdhsa_enable_private_segment 0
		.amdhsa_system_sgpr_workgroup_id_x 1
		.amdhsa_system_sgpr_workgroup_id_y 0
		.amdhsa_system_sgpr_workgroup_id_z 0
		.amdhsa_system_sgpr_workgroup_info 0
		.amdhsa_system_vgpr_workitem_id 0
		.amdhsa_next_free_vgpr 60
		.amdhsa_next_free_sgpr 44
		.amdhsa_named_barrier_count 0
		.amdhsa_reserve_vcc 1
		.amdhsa_float_round_mode_32 0
		.amdhsa_float_round_mode_16_64 0
		.amdhsa_float_denorm_mode_32 3
		.amdhsa_float_denorm_mode_16_64 3
		.amdhsa_fp16_overflow 0
		.amdhsa_memory_ordered 1
		.amdhsa_forward_progress 1
		.amdhsa_inst_pref_size 20
		.amdhsa_round_robin_scheduling 0
		.amdhsa_exception_fp_ieee_invalid_op 0
		.amdhsa_exception_fp_denorm_src 0
		.amdhsa_exception_fp_ieee_div_zero 0
		.amdhsa_exception_fp_ieee_overflow 0
		.amdhsa_exception_fp_ieee_underflow 0
		.amdhsa_exception_fp_ieee_inexact 0
		.amdhsa_exception_int_div_zero 0
	.end_amdhsa_kernel
	.text
.Lfunc_end13:
	.size	_Z22calcMonotonicQForElemsPKiPKdPdS3_S2_S2_S2_S2_S2_S2_S2_S2_S0_S0_S0_S0_S0_S0_S2_ddddi, .Lfunc_end13-_Z22calcMonotonicQForElemsPKiPKdPdS3_S2_S2_S2_S2_S2_S2_S2_S2_S0_S0_S0_S0_S0_S0_S2_ddddi
                                        ; -- End function
	.set _Z22calcMonotonicQForElemsPKiPKdPdS3_S2_S2_S2_S2_S2_S2_S2_S2_S0_S0_S0_S0_S0_S0_S2_ddddi.num_vgpr, 60
	.set _Z22calcMonotonicQForElemsPKiPKdPdS3_S2_S2_S2_S2_S2_S2_S2_S2_S0_S0_S0_S0_S0_S0_S2_ddddi.num_agpr, 0
	.set _Z22calcMonotonicQForElemsPKiPKdPdS3_S2_S2_S2_S2_S2_S2_S2_S2_S0_S0_S0_S0_S0_S0_S2_ddddi.numbered_sgpr, 44
	.set _Z22calcMonotonicQForElemsPKiPKdPdS3_S2_S2_S2_S2_S2_S2_S2_S2_S0_S0_S0_S0_S0_S0_S2_ddddi.num_named_barrier, 0
	.set _Z22calcMonotonicQForElemsPKiPKdPdS3_S2_S2_S2_S2_S2_S2_S2_S2_S0_S0_S0_S0_S0_S0_S2_ddddi.private_seg_size, 0
	.set _Z22calcMonotonicQForElemsPKiPKdPdS3_S2_S2_S2_S2_S2_S2_S2_S2_S0_S0_S0_S0_S0_S0_S2_ddddi.uses_vcc, 1
	.set _Z22calcMonotonicQForElemsPKiPKdPdS3_S2_S2_S2_S2_S2_S2_S2_S2_S0_S0_S0_S0_S0_S0_S2_ddddi.uses_flat_scratch, 0
	.set _Z22calcMonotonicQForElemsPKiPKdPdS3_S2_S2_S2_S2_S2_S2_S2_S2_S0_S0_S0_S0_S0_S0_S2_ddddi.has_dyn_sized_stack, 0
	.set _Z22calcMonotonicQForElemsPKiPKdPdS3_S2_S2_S2_S2_S2_S2_S2_S2_S0_S0_S0_S0_S0_S0_S2_ddddi.has_recursion, 0
	.set _Z22calcMonotonicQForElemsPKiPKdPdS3_S2_S2_S2_S2_S2_S2_S2_S2_S0_S0_S0_S0_S0_S0_S2_ddddi.has_indirect_call, 0
	.section	.AMDGPU.csdata,"",@progbits
; Kernel info:
; codeLenInByte = 2452
; TotalNumSgprs: 46
; NumVgprs: 60
; ScratchSize: 0
; MemoryBound: 0
; FloatMode: 240
; IeeeMode: 1
; LDSByteSize: 0 bytes/workgroup (compile time only)
; SGPRBlocks: 0
; VGPRBlocks: 3
; NumSGPRsForWavesPerEU: 46
; NumVGPRsForWavesPerEU: 60
; NamedBarCnt: 0
; Occupancy: 16
; WaveLimiterHint : 1
; COMPUTE_PGM_RSRC2:SCRATCH_EN: 0
; COMPUTE_PGM_RSRC2:USER_SGPR: 2
; COMPUTE_PGM_RSRC2:TRAP_HANDLER: 0
; COMPUTE_PGM_RSRC2:TGID_X_EN: 1
; COMPUTE_PGM_RSRC2:TGID_Y_EN: 0
; COMPUTE_PGM_RSRC2:TGID_Z_EN: 0
; COMPUTE_PGM_RSRC2:TIDIG_COMP_CNT: 0
	.text
	.protected	_Z31applyMaterialPropertiesForElemsPKdS0_S0_PKiS2_PdS3_S3_S3_S3_S3_ddddddddddi ; -- Begin function _Z31applyMaterialPropertiesForElemsPKdS0_S0_PKiS2_PdS3_S3_S3_S3_S3_ddddddddddi
	.globl	_Z31applyMaterialPropertiesForElemsPKdS0_S0_PKiS2_PdS3_S3_S3_S3_S3_ddddddddddi
	.p2align	8
	.type	_Z31applyMaterialPropertiesForElemsPKdS0_S0_PKiS2_PdS3_S3_S3_S3_S3_ddddddddddi,@function
_Z31applyMaterialPropertiesForElemsPKdS0_S0_PKiS2_PdS3_S3_S3_S3_S3_ddddddddddi: ; @_Z31applyMaterialPropertiesForElemsPKdS0_S0_PKiS2_PdS3_S3_S3_S3_S3_ddddddddddi
; %bb.0:
	s_clause 0x1
	s_load_b32 s2, s[0:1], 0xbc
	s_load_b32 s3, s[0:1], 0xa8
	s_bfe_u32 s4, ttmp6, 0x4000c
	s_and_b32 s5, ttmp6, 15
	s_add_co_i32 s4, s4, 1
	s_getreg_b32 s6, hwreg(HW_REG_IB_STS2, 6, 4)
	s_mul_i32 s4, ttmp9, s4
	s_delay_alu instid0(SALU_CYCLE_1) | instskip(SKIP_4) | instid1(SALU_CYCLE_1)
	s_add_co_i32 s5, s5, s4
	s_wait_kmcnt 0x0
	s_and_b32 s2, s2, 0xffff
	s_cmp_eq_u32 s6, 0
	s_cselect_b32 s4, ttmp9, s5
	v_mad_u32 v2, s4, s2, v0
	s_mov_b32 s2, exec_lo
	s_delay_alu instid0(VALU_DEP_1)
	v_cmpx_gt_i32_e64 s3, v2
	s_cbranch_execz .LBB14_16
; %bb.1:
	s_clause 0x1
	s_load_b64 s[2:3], s[0:1], 0x18
	s_load_b256 s[4:11], s[0:1], 0x70
	v_ashrrev_i32_e32 v3, 31, v2
	s_wait_kmcnt 0x0
	global_load_b32 v26, v2, s[2:3] scale_offset
	v_cmp_neq_f64_e64 s20, s[10:11], 0
	s_wait_xcnt 0x0
	s_clause 0x1
	s_load_b64 s[2:3], s[0:1], 0x50
	s_load_b256 s[12:19], s[0:1], 0x90
	s_wait_kmcnt 0x0
	v_lshl_add_u64 v[4:5], v[2:3], 3, s[2:3]
	s_and_b32 vcc_lo, exec_lo, s20
	s_cbranch_vccnz .LBB14_3
; %bb.2:
	global_load_b64 v[0:1], v[4:5], off
	s_cbranch_execz .LBB14_4
	s_branch .LBB14_7
.LBB14_3:
                                        ; implicit-def: $vgpr0_vgpr1
.LBB14_4:
	s_wait_loadcnt 0x0
	global_load_b64 v[0:1], v[4:5], off
	s_mov_b32 s2, exec_lo
	s_wait_loadcnt 0x0
	v_cmpx_gt_f64_e32 s[10:11], v[0:1]
	s_cbranch_execz .LBB14_6
; %bb.5:
	v_mov_b64_e32 v[0:1], s[10:11]
	global_store_b64 v[4:5], v[0:1], off
.LBB14_6:
	s_wait_xcnt 0x0
	s_or_b32 exec_lo, exec_lo, s2
.LBB14_7:
	v_cmp_neq_f64_e64 s2, s[8:9], 0
	s_wait_loadcnt 0x0
	v_cmp_lt_f64_e32 vcc_lo, s[8:9], v[0:1]
	s_and_b32 s3, s2, vcc_lo
	s_wait_xcnt 0x0
	s_and_saveexec_b32 s2, s3
	s_cbranch_execz .LBB14_9
; %bb.8:
	v_mov_b64_e32 v[0:1], s[8:9]
	global_store_b64 v[4:5], v[0:1], off
.LBB14_9:
	s_wait_xcnt 0x0
	s_or_b32 exec_lo, exec_lo, s2
	v_mul_f64_e32 v[10:11], v[0:1], v[0:1]
	s_clause 0x1
	s_load_b128 s[20:23], s[0:1], 0x28
	s_load_b64 s[2:3], s[0:1], 0x38
	v_lshlrev_b64_e32 v[2:3], 3, v[2:3]
	s_mov_b32 s18, exec_lo
	v_cmpx_gt_i32_e32 1, v26
	s_xor_b32 s18, exec_lo, s18
; %bb.10:
	v_mul_f64_e32 v[10:11], v[0:1], v[0:1]
                                        ; implicit-def: $vgpr26
; %bb.11:
	s_or_saveexec_b32 s24, s18
	s_wait_kmcnt 0x0
	v_add_nc_u64_e32 v[4:5], s[2:3], v[2:3]
	v_add_nc_u64_e32 v[8:9], s[22:23], v[2:3]
	;; [unrolled: 1-line block ×3, first 2 shown]
                                        ; implicit-def: $vgpr24_vgpr25
                                        ; implicit-def: $vgpr12_vgpr13
                                        ; implicit-def: $vgpr20_vgpr21
                                        ; implicit-def: $vgpr18_vgpr19
	s_xor_b32 exec_lo, exec_lo, s24
	s_cbranch_execz .LBB14_15
; %bb.12:
	s_clause 0x1
	s_load_b64 s[2:3], s[0:1], 0x10
	s_load_b128 s[20:23], s[0:1], 0x0
	s_wait_kmcnt 0x0
	v_add_nc_u64_e32 v[18:19], s[2:3], v[2:3]
	v_add_nc_u64_e32 v[28:29], s[22:23], v[2:3]
	;; [unrolled: 1-line block ×3, first 2 shown]
	s_mov_b32 s2, 0
	global_load_b64 v[20:21], v[6:7], off
	global_load_b64 v[22:23], v[8:9], off
	;; [unrolled: 1-line block ×6, first 2 shown]
.LBB14_13:                              ; =>This Inner Loop Header: Depth=1
	v_add_nc_u32_e32 v26, -1, v26
	s_delay_alu instid0(VALU_DEP_1)
	v_cmp_eq_u32_e32 vcc_lo, 0, v26
	s_or_b32 s2, vcc_lo, s2
	s_wait_xcnt 0x0
	s_and_not1_b32 exec_lo, exec_lo, s2
	s_cbranch_execnz .LBB14_13
; %bb.14:
	s_or_b32 exec_lo, exec_lo, s2
	s_wait_loadcnt 0x3
	v_fma_f64 v[18:19], -0.5, v[14:15], v[0:1]
	v_div_scale_f64 v[26:27], null, v[0:1], v[0:1], 1.0
	v_div_scale_f64 v[38:39], vcc_lo, 1.0, v[0:1], 1.0
	s_mov_b64 s[18:19], 0x3842e7922a37d1a0
	v_div_scale_f64 v[28:29], null, v[18:19], v[18:19], 1.0
	v_rcp_f64_e32 v[30:31], v[26:27]
	s_delay_alu instid0(VALU_DEP_1) | instskip(NEXT) | instid1(TRANS32_DEP_2)
	v_rcp_f64_e32 v[32:33], v[28:29]
	v_fma_f64 v[34:35], -v[26:27], v[30:31], 1.0
	s_delay_alu instid0(TRANS32_DEP_1) | instskip(NEXT) | instid1(VALU_DEP_2)
	v_fma_f64 v[36:37], -v[28:29], v[32:33], 1.0
	v_fmac_f64_e32 v[30:31], v[30:31], v[34:35]
	s_delay_alu instid0(VALU_DEP_2) | instskip(NEXT) | instid1(VALU_DEP_2)
	v_fmac_f64_e32 v[32:33], v[32:33], v[36:37]
	v_fma_f64 v[34:35], -v[26:27], v[30:31], 1.0
	s_delay_alu instid0(VALU_DEP_2) | instskip(NEXT) | instid1(VALU_DEP_2)
	v_fma_f64 v[36:37], -v[28:29], v[32:33], 1.0
	v_fmac_f64_e32 v[30:31], v[30:31], v[34:35]
	v_div_scale_f64 v[34:35], s2, 1.0, v[18:19], 1.0
	s_delay_alu instid0(VALU_DEP_3) | instskip(NEXT) | instid1(VALU_DEP_3)
	v_fmac_f64_e32 v[32:33], v[32:33], v[36:37]
	v_mul_f64_e32 v[36:37], v[38:39], v[30:31]
	s_delay_alu instid0(VALU_DEP_2) | instskip(NEXT) | instid1(VALU_DEP_2)
	v_mul_f64_e32 v[40:41], v[34:35], v[32:33]
	v_fma_f64 v[26:27], -v[26:27], v[36:37], v[38:39]
	s_delay_alu instid0(VALU_DEP_2) | instskip(NEXT) | instid1(VALU_DEP_2)
	v_fma_f64 v[28:29], -v[28:29], v[40:41], v[34:35]
	v_div_fmas_f64 v[26:27], v[26:27], v[30:31], v[36:37]
	s_mov_b32 vcc_lo, s2
	v_cmp_le_f64_e64 s2, s[8:9], v[0:1]
	s_delay_alu instid0(VALU_DEP_3) | instskip(SKIP_1) | instid1(VALU_DEP_4)
	v_div_fmas_f64 v[28:29], v[28:29], v[32:33], v[40:41]
	v_cmp_nge_f64_e32 vcc_lo, s[10:11], v[0:1]
	v_div_fixup_f64 v[26:27], v[26:27], v[0:1], 1.0
	s_load_b128 s[8:11], s[0:1], 0x58
	v_cndmask_b32_e64 v23, v23, 0, s2
	v_cndmask_b32_e64 v22, v22, 0, s2
	s_delay_alu instid0(VALU_DEP_1) | instskip(SKIP_2) | instid1(VALU_DEP_2)
	v_add_f64_e32 v[20:21], v[22:23], v[20:21]
	v_div_fixup_f64 v[28:29], v[28:29], v[18:19], 1.0
	v_add_f64_e32 v[18:19], -1.0, v[26:27]
	v_add_f64_e32 v[26:27], -1.0, v[28:29]
	s_delay_alu instid0(VALU_DEP_1) | instskip(SKIP_1) | instid1(VALU_DEP_2)
	v_dual_cndmask_b32 v27, v19, v27 :: v_dual_cndmask_b32 v26, v18, v26
	v_add_f64_e32 v[18:19], 1.0, v[18:19]
	v_add_f64_e32 v[26:27], 1.0, v[26:27]
	s_delay_alu instid0(VALU_DEP_2) | instskip(NEXT) | instid1(VALU_DEP_2)
	v_mul_f64_e32 v[18:19], 0x3fe5555555555555, v[18:19]
	v_cndmask_b32_e64 v27, v27, 0x3ff00000, s2
	s_delay_alu instid0(VALU_DEP_3) | instskip(NEXT) | instid1(VALU_DEP_1)
	v_cndmask_b32_e64 v26, v26, 0, s2
	v_div_scale_f64 v[28:29], null, v[26:27], v[26:27], 1.0
	v_div_scale_f64 v[34:35], vcc_lo, 1.0, v[26:27], 1.0
	v_cndmask_b32_e64 v19, v19, 0x3fe55555, s2
	v_cndmask_b32_e64 v18, v18, 0x55555555, s2
	s_delay_alu instid0(VALU_DEP_4) | instskip(SKIP_1) | instid1(TRANS32_DEP_1)
	v_rcp_f64_e32 v[30:31], v[28:29]
	v_nop
	v_fma_f64 v[32:33], -v[28:29], v[30:31], 1.0
	s_delay_alu instid0(VALU_DEP_1) | instskip(NEXT) | instid1(VALU_DEP_1)
	v_fmac_f64_e32 v[30:31], v[30:31], v[32:33]
	v_fma_f64 v[32:33], -v[28:29], v[30:31], 1.0
	s_delay_alu instid0(VALU_DEP_1) | instskip(SKIP_1) | instid1(VALU_DEP_2)
	v_fmac_f64_e32 v[30:31], v[30:31], v[32:33]
	v_mul_f64_e32 v[32:33], 0.5, v[14:15]
	v_mul_f64_e32 v[22:23], v[34:35], v[30:31]
	s_wait_loadcnt 0x0
	s_delay_alu instid0(VALU_DEP_2) | instskip(NEXT) | instid1(VALU_DEP_2)
	v_fma_f64 v[24:25], -v[32:33], v[20:21], v[24:25]
	v_fma_f64 v[28:29], -v[28:29], v[22:23], v[34:35]
	s_delay_alu instid0(VALU_DEP_2) | instskip(SKIP_2) | instid1(VALU_DEP_4)
	v_add_f64_e32 v[34:35], 0, v[24:25]
	v_cmp_gt_f64_e64 s3, s[14:15], v[24:25]
	v_mul_f64_e32 v[24:25], 0x3fe5555555555555, v[26:27]
	v_div_fmas_f64 v[22:23], v[28:29], v[30:31], v[22:23]
	s_delay_alu instid0(VALU_DEP_3) | instskip(SKIP_1) | instid1(VALU_DEP_1)
	v_cndmask_b32_e64 v29, v35, s15, s3
	v_cndmask_b32_e64 v28, v34, s14, s3
	v_mul_f64_e32 v[30:31], v[28:29], v[24:25]
	s_delay_alu instid0(VALU_DEP_4) | instskip(SKIP_1) | instid1(VALU_DEP_2)
	v_div_fixup_f64 v[22:23], v[22:23], v[26:27], 1.0
	s_wait_kmcnt 0x0
	v_cmp_lt_f64_e64 s3, |v[30:31]|, s[10:11]
	s_delay_alu instid0(VALU_DEP_2) | instskip(SKIP_1) | instid1(SALU_CYCLE_1)
	v_mul_f64_e32 v[22:23], v[22:23], v[22:23]
	s_or_b32 s3, s2, s3
	v_cndmask_b32_e64 v27, v31, 0, s3
	v_cndmask_b32_e64 v26, v30, 0, s3
	v_cmp_lt_f64_e64 s3, 0, v[14:15]
	s_delay_alu instid0(VALU_DEP_2) | instskip(SKIP_3) | instid1(VALU_DEP_1)
	v_cmp_gt_f64_e32 vcc_lo, s[12:13], v[26:27]
	v_mul_f64_e32 v[22:23], v[24:25], v[22:23]
	v_cndmask_b32_e64 v25, v27, s13, vcc_lo
	v_cndmask_b32_e64 v24, v26, s12, vcc_lo
	v_mul_f64_e32 v[22:23], v[22:23], v[24:25]
	s_delay_alu instid0(VALU_DEP_1) | instskip(NEXT) | instid1(VALU_DEP_1)
	v_fmac_f64_e32 v[22:23], 0x3fe5555555555555, v[28:29]
	v_div_scale_f64 v[26:27], null, s[16:17], s[16:17], v[22:23]
	v_div_scale_f64 v[36:37], vcc_lo, v[22:23], s[16:17], v[22:23]
	s_delay_alu instid0(VALU_DEP_2) | instskip(SKIP_1) | instid1(TRANS32_DEP_1)
	v_rcp_f64_e32 v[30:31], v[26:27]
	v_nop
	v_fma_f64 v[34:35], -v[26:27], v[30:31], 1.0
	s_delay_alu instid0(VALU_DEP_1) | instskip(NEXT) | instid1(VALU_DEP_1)
	v_fmac_f64_e32 v[30:31], v[30:31], v[34:35]
	v_fma_f64 v[34:35], -v[26:27], v[30:31], 1.0
	s_delay_alu instid0(VALU_DEP_1) | instskip(NEXT) | instid1(VALU_DEP_1)
	v_fmac_f64_e32 v[30:31], v[30:31], v[34:35]
	v_mul_f64_e32 v[34:35], v[36:37], v[30:31]
	s_delay_alu instid0(VALU_DEP_1) | instskip(NEXT) | instid1(VALU_DEP_1)
	v_fma_f64 v[26:27], -v[26:27], v[34:35], v[36:37]
	v_div_fmas_f64 v[26:27], v[26:27], v[30:31], v[34:35]
	s_delay_alu instid0(VALU_DEP_1) | instskip(NEXT) | instid1(VALU_DEP_1)
	v_div_fixup_f64 v[22:23], v[26:27], s[16:17], v[22:23]
	v_cmp_gt_f64_e32 vcc_lo, 0x10000000, v[22:23]
	v_cndmask_b32_e64 v26, 0, 0x100, vcc_lo
	s_delay_alu instid0(VALU_DEP_1) | instskip(NEXT) | instid1(VALU_DEP_1)
	v_ldexp_f64 v[26:27], v[22:23], v26
	v_rsq_f64_e32 v[30:31], v[26:27]
	v_nop
	s_delay_alu instid0(TRANS32_DEP_1) | instskip(SKIP_1) | instid1(VALU_DEP_1)
	v_mul_f64_e32 v[34:35], v[26:27], v[30:31]
	v_mul_f64_e32 v[30:31], 0.5, v[30:31]
	v_fma_f64 v[36:37], -v[30:31], v[34:35], 0.5
	s_delay_alu instid0(VALU_DEP_1) | instskip(SKIP_1) | instid1(VALU_DEP_2)
	v_fmac_f64_e32 v[34:35], v[34:35], v[36:37]
	v_fmac_f64_e32 v[30:31], v[30:31], v[36:37]
	v_fma_f64 v[36:37], -v[34:35], v[34:35], v[26:27]
	s_delay_alu instid0(VALU_DEP_1) | instskip(NEXT) | instid1(VALU_DEP_1)
	v_fmac_f64_e32 v[34:35], v[36:37], v[30:31]
	v_fma_f64 v[36:37], -v[34:35], v[34:35], v[26:27]
	s_delay_alu instid0(VALU_DEP_1) | instskip(SKIP_2) | instid1(VALU_DEP_2)
	v_fmac_f64_e32 v[34:35], v[36:37], v[30:31]
	v_cndmask_b32_e64 v30, 0, 0xffffff80, vcc_lo
	v_cmp_class_f64_e64 vcc_lo, v[26:27], 0x260
	v_ldexp_f64 v[30:31], v[34:35], v30
	s_delay_alu instid0(VALU_DEP_1) | instskip(SKIP_2) | instid1(VALU_DEP_3)
	v_dual_cndmask_b32 v26, v30, v26 :: v_dual_cndmask_b32 v27, v31, v27
	v_cmp_nge_f64_e32 vcc_lo, s[18:19], v[22:23]
	v_mul_f64_e32 v[30:31], v[10:11], v[18:19]
	v_cndmask_b32_e32 v23, 0x3c18987c, v27, vcc_lo
	s_delay_alu instid0(VALU_DEP_4) | instskip(NEXT) | instid1(VALU_DEP_1)
	v_cndmask_b32_e32 v22, 0xee7f439d, v26, vcc_lo
	v_fma_f64 v[22:23], v[16:17], v[22:23], v[12:13]
	s_delay_alu instid0(VALU_DEP_1) | instskip(NEXT) | instid1(VALU_DEP_2)
	v_cndmask_b32_e64 v23, v23, 0, s3
	v_cndmask_b32_e64 v22, v22, 0, s3
	s_delay_alu instid0(VALU_DEP_1) | instskip(NEXT) | instid1(VALU_DEP_1)
	v_add_f64_e32 v[24:25], v[24:25], v[22:23]
	v_mul_f64_e32 v[26:27], -4.0, v[24:25]
	v_ldexp_f64 v[24:25], -v[24:25], 3
	s_delay_alu instid0(VALU_DEP_2) | instskip(NEXT) | instid1(VALU_DEP_1)
	v_fmamk_f64 v[26:27], v[20:21], 0x40080000, v[26:27]
	v_fmac_f64_e32 v[28:29], v[32:33], v[26:27]
	s_delay_alu instid0(VALU_DEP_1) | instskip(NEXT) | instid1(VALU_DEP_1)
	v_add_f64_e32 v[26:27], 0, v[28:29]
	v_cmp_nlt_f64_e64 vcc_lo, |v[26:27]|, s[8:9]
	v_dual_cndmask_b32 v27, 0, v27 :: v_dual_cndmask_b32 v26, 0, v26
	v_fmamk_f64 v[20:21], v[20:21], 0x401c0000, v[24:25]
	s_delay_alu instid0(VALU_DEP_2) | instskip(NEXT) | instid1(VALU_DEP_4)
	v_cmp_gt_f64_e32 vcc_lo, s[14:15], v[26:27]
	v_cndmask_b32_e64 v27, v27, s15, vcc_lo
	v_cndmask_b32_e64 v26, v26, s14, vcc_lo
	s_delay_alu instid0(VALU_DEP_1) | instskip(NEXT) | instid1(VALU_DEP_1)
	v_mul_f64_e32 v[28:29], v[18:19], v[26:27]
	v_cmp_lt_f64_e64 s20, |v[28:29]|, s[10:11]
	s_or_b32 s20, s2, s20
	s_delay_alu instid0(SALU_CYCLE_1) | instskip(SKIP_1) | instid1(VALU_DEP_1)
	v_cndmask_b32_e64 v29, v29, 0, s20
	v_cndmask_b32_e64 v28, v28, 0, s20
	v_cmp_gt_f64_e32 vcc_lo, s[12:13], v[28:29]
	v_cndmask_b32_e64 v29, v29, s13, vcc_lo
	v_cndmask_b32_e64 v28, v28, s12, vcc_lo
	s_delay_alu instid0(VALU_DEP_1) | instskip(NEXT) | instid1(VALU_DEP_1)
	v_mul_f64_e32 v[32:33], v[30:31], v[28:29]
	v_fmac_f64_e32 v[32:33], 0x3fe5555555555555, v[26:27]
	s_delay_alu instid0(VALU_DEP_1) | instskip(SKIP_1) | instid1(VALU_DEP_2)
	v_div_scale_f64 v[34:35], null, s[16:17], s[16:17], v[32:33]
	v_div_scale_f64 v[40:41], vcc_lo, v[32:33], s[16:17], v[32:33]
	v_rcp_f64_e32 v[36:37], v[34:35]
	v_nop
	s_delay_alu instid0(TRANS32_DEP_1) | instskip(NEXT) | instid1(VALU_DEP_1)
	v_fma_f64 v[38:39], -v[34:35], v[36:37], 1.0
	v_fmac_f64_e32 v[36:37], v[36:37], v[38:39]
	s_delay_alu instid0(VALU_DEP_1) | instskip(NEXT) | instid1(VALU_DEP_1)
	v_fma_f64 v[38:39], -v[34:35], v[36:37], 1.0
	v_fmac_f64_e32 v[36:37], v[36:37], v[38:39]
	s_delay_alu instid0(VALU_DEP_1) | instskip(NEXT) | instid1(VALU_DEP_1)
	v_mul_f64_e32 v[38:39], v[40:41], v[36:37]
	v_fma_f64 v[34:35], -v[34:35], v[38:39], v[40:41]
	s_delay_alu instid0(VALU_DEP_1) | instskip(NEXT) | instid1(VALU_DEP_1)
	v_div_fmas_f64 v[34:35], v[34:35], v[36:37], v[38:39]
	v_div_fixup_f64 v[32:33], v[34:35], s[16:17], v[32:33]
	s_delay_alu instid0(VALU_DEP_1) | instskip(SKIP_1) | instid1(VALU_DEP_1)
	v_cmp_gt_f64_e32 vcc_lo, 0x10000000, v[32:33]
	v_cndmask_b32_e64 v34, 0, 0x100, vcc_lo
	v_ldexp_f64 v[34:35], v[32:33], v34
	s_delay_alu instid0(VALU_DEP_1) | instskip(SKIP_1) | instid1(TRANS32_DEP_1)
	v_rsq_f64_e32 v[36:37], v[34:35]
	v_nop
	v_mul_f64_e32 v[38:39], v[34:35], v[36:37]
	v_mul_f64_e32 v[36:37], 0.5, v[36:37]
	s_delay_alu instid0(VALU_DEP_1) | instskip(NEXT) | instid1(VALU_DEP_1)
	v_fma_f64 v[40:41], -v[36:37], v[38:39], 0.5
	v_fmac_f64_e32 v[38:39], v[38:39], v[40:41]
	v_fmac_f64_e32 v[36:37], v[36:37], v[40:41]
	s_delay_alu instid0(VALU_DEP_2) | instskip(NEXT) | instid1(VALU_DEP_1)
	v_fma_f64 v[40:41], -v[38:39], v[38:39], v[34:35]
	v_fmac_f64_e32 v[38:39], v[40:41], v[36:37]
	s_delay_alu instid0(VALU_DEP_1) | instskip(NEXT) | instid1(VALU_DEP_1)
	v_fma_f64 v[40:41], -v[38:39], v[38:39], v[34:35]
	v_fmac_f64_e32 v[38:39], v[40:41], v[36:37]
	v_cndmask_b32_e64 v36, 0, 0xffffff80, vcc_lo
	v_cmp_class_f64_e64 vcc_lo, v[34:35], 0x260
	s_delay_alu instid0(VALU_DEP_2) | instskip(NEXT) | instid1(VALU_DEP_1)
	v_ldexp_f64 v[36:37], v[38:39], v36
	v_dual_cndmask_b32 v34, v36, v34 :: v_dual_cndmask_b32 v35, v37, v35
	v_cmp_nge_f64_e32 vcc_lo, s[18:19], v[32:33]
	s_delay_alu instid0(VALU_DEP_2) | instskip(NEXT) | instid1(VALU_DEP_3)
	v_cndmask_b32_e32 v33, 0x3c18987c, v35, vcc_lo
	v_cndmask_b32_e32 v32, 0xee7f439d, v34, vcc_lo
	s_delay_alu instid0(VALU_DEP_1) | instskip(NEXT) | instid1(VALU_DEP_1)
	v_fma_f64 v[32:33], v[16:17], v[32:33], v[12:13]
	v_cndmask_b32_e64 v33, v33, 0, s3
	s_delay_alu instid0(VALU_DEP_2) | instskip(NEXT) | instid1(VALU_DEP_1)
	v_cndmask_b32_e64 v32, v32, 0, s3
	v_add_f64_e32 v[28:29], v[28:29], v[32:33]
	s_delay_alu instid0(VALU_DEP_1) | instskip(NEXT) | instid1(VALU_DEP_1)
	v_add_f64_e32 v[20:21], v[20:21], v[28:29]
	v_mul_f64_e32 v[20:21], v[14:15], v[20:21]
	s_delay_alu instid0(VALU_DEP_1) | instskip(NEXT) | instid1(VALU_DEP_1)
	v_fmamk_f64 v[20:21], v[20:21], 0xbfc5555555555555, v[26:27]
	v_cmp_nlt_f64_e64 vcc_lo, |v[20:21]|, s[8:9]
	v_dual_cndmask_b32 v21, 0, v21 :: v_dual_cndmask_b32 v20, 0, v20
	s_delay_alu instid0(VALU_DEP_1) | instskip(NEXT) | instid1(VALU_DEP_3)
	v_cmp_gt_f64_e32 vcc_lo, s[14:15], v[20:21]
	v_cndmask_b32_e64 v21, v21, s15, vcc_lo
	v_cndmask_b32_e64 v20, v20, s14, vcc_lo
	s_delay_alu instid0(VALU_DEP_1) | instskip(NEXT) | instid1(VALU_DEP_1)
	v_mul_f64_e32 v[24:25], v[18:19], v[20:21]
	v_cmp_lt_f64_e64 s3, |v[24:25]|, s[10:11]
	s_or_b32 s2, s2, s3
	s_delay_alu instid0(SALU_CYCLE_1) | instskip(SKIP_1) | instid1(VALU_DEP_1)
	v_cndmask_b32_e64 v25, v25, 0, s2
	v_cndmask_b32_e64 v24, v24, 0, s2
	v_cmp_gt_f64_e32 vcc_lo, s[12:13], v[24:25]
	v_cndmask_b32_e64 v25, v25, s13, vcc_lo
	v_cndmask_b32_e64 v24, v24, s12, vcc_lo
	s_delay_alu instid0(VALU_DEP_1) | instskip(NEXT) | instid1(VALU_DEP_1)
	v_mul_f64_e32 v[26:27], v[30:31], v[24:25]
	v_fmac_f64_e32 v[26:27], 0x3fe5555555555555, v[20:21]
	s_delay_alu instid0(VALU_DEP_1) | instskip(SKIP_1) | instid1(VALU_DEP_2)
	v_div_scale_f64 v[28:29], null, s[16:17], s[16:17], v[26:27]
	v_div_scale_f64 v[34:35], vcc_lo, v[26:27], s[16:17], v[26:27]
	v_rcp_f64_e32 v[30:31], v[28:29]
	v_nop
	s_delay_alu instid0(TRANS32_DEP_1) | instskip(NEXT) | instid1(VALU_DEP_1)
	v_fma_f64 v[32:33], -v[28:29], v[30:31], 1.0
	v_fmac_f64_e32 v[30:31], v[30:31], v[32:33]
	s_delay_alu instid0(VALU_DEP_1) | instskip(NEXT) | instid1(VALU_DEP_1)
	v_fma_f64 v[32:33], -v[28:29], v[30:31], 1.0
	v_fmac_f64_e32 v[30:31], v[30:31], v[32:33]
	s_delay_alu instid0(VALU_DEP_1) | instskip(NEXT) | instid1(VALU_DEP_1)
	v_mul_f64_e32 v[32:33], v[34:35], v[30:31]
	v_fma_f64 v[28:29], -v[28:29], v[32:33], v[34:35]
	s_delay_alu instid0(VALU_DEP_1) | instskip(NEXT) | instid1(VALU_DEP_1)
	v_div_fmas_f64 v[28:29], v[28:29], v[30:31], v[32:33]
	v_div_fixup_f64 v[26:27], v[28:29], s[16:17], v[26:27]
	s_delay_alu instid0(VALU_DEP_1) | instskip(SKIP_1) | instid1(VALU_DEP_1)
	v_cmp_gt_f64_e32 vcc_lo, 0x10000000, v[26:27]
	v_cndmask_b32_e64 v28, 0, 0x100, vcc_lo
	v_ldexp_f64 v[28:29], v[26:27], v28
	s_delay_alu instid0(VALU_DEP_1) | instskip(SKIP_1) | instid1(TRANS32_DEP_1)
	v_rsq_f64_e32 v[30:31], v[28:29]
	v_nop
	v_mul_f64_e32 v[32:33], v[28:29], v[30:31]
	v_mul_f64_e32 v[30:31], 0.5, v[30:31]
	s_delay_alu instid0(VALU_DEP_1) | instskip(NEXT) | instid1(VALU_DEP_1)
	v_fma_f64 v[34:35], -v[30:31], v[32:33], 0.5
	v_fmac_f64_e32 v[32:33], v[32:33], v[34:35]
	v_fmac_f64_e32 v[30:31], v[30:31], v[34:35]
	s_delay_alu instid0(VALU_DEP_2) | instskip(NEXT) | instid1(VALU_DEP_1)
	v_fma_f64 v[34:35], -v[32:33], v[32:33], v[28:29]
	v_fmac_f64_e32 v[32:33], v[34:35], v[30:31]
	s_delay_alu instid0(VALU_DEP_1) | instskip(NEXT) | instid1(VALU_DEP_1)
	v_fma_f64 v[34:35], -v[32:33], v[32:33], v[28:29]
	v_fmac_f64_e32 v[32:33], v[34:35], v[30:31]
	v_cndmask_b32_e64 v30, 0, 0xffffff80, vcc_lo
	v_cmp_class_f64_e64 vcc_lo, v[28:29], 0x260
	s_delay_alu instid0(VALU_DEP_2) | instskip(NEXT) | instid1(VALU_DEP_1)
	v_ldexp_f64 v[30:31], v[32:33], v30
	v_dual_cndmask_b32 v28, v30, v28 :: v_dual_cndmask_b32 v29, v31, v29
	v_cmp_nge_f64_e32 vcc_lo, s[18:19], v[26:27]
	s_delay_alu instid0(VALU_DEP_2) | instskip(NEXT) | instid1(VALU_DEP_3)
	v_cndmask_b32_e32 v27, 0x3c18987c, v29, vcc_lo
	v_cndmask_b32_e32 v26, 0xee7f439d, v28, vcc_lo
	v_cmp_nge_f64_e32 vcc_lo, 0, v[14:15]
	s_delay_alu instid0(VALU_DEP_2) | instskip(NEXT) | instid1(VALU_DEP_1)
	v_fmac_f64_e32 v[12:13], v[16:17], v[26:27]
	v_cmp_nlt_f64_e64 s2, |v[12:13]|, s[4:5]
	v_dual_cndmask_b32 v12, v12, v22 :: v_dual_cndmask_b32 v13, v13, v23
	s_or_b32 vcc_lo, vcc_lo, s2
	s_delay_alu instid0(VALU_DEP_1)
	v_dual_cndmask_b32 v13, 0, v13 :: v_dual_cndmask_b32 v12, 0, v12
.LBB14_15:
	s_or_b32 exec_lo, exec_lo, s24
	s_delay_alu instid0(VALU_DEP_4) | instskip(SKIP_3) | instid1(VALU_DEP_1)
	v_mul_f64_e32 v[10:11], v[10:11], v[18:19]
	s_load_b128 s[8:11], s[0:1], 0x40
	s_wait_xcnt 0x0
	s_mov_b64 s[0:1], 0x3842e7922a37d1a0
	v_mul_f64_e32 v[10:11], v[10:11], v[24:25]
	s_delay_alu instid0(VALU_DEP_1) | instskip(NEXT) | instid1(VALU_DEP_1)
	v_fmamk_f64 v[10:11], v[20:21], 0x3fe5555555555555, v[10:11]
	v_div_scale_f64 v[14:15], null, s[16:17], s[16:17], v[10:11]
	v_div_scale_f64 v[22:23], vcc_lo, v[10:11], s[16:17], v[10:11]
	s_delay_alu instid0(VALU_DEP_2) | instskip(SKIP_1) | instid1(TRANS32_DEP_1)
	v_rcp_f64_e32 v[16:17], v[14:15]
	v_nop
	v_fma_f64 v[18:19], -v[14:15], v[16:17], 1.0
	s_delay_alu instid0(VALU_DEP_1) | instskip(NEXT) | instid1(VALU_DEP_1)
	v_fmac_f64_e32 v[16:17], v[16:17], v[18:19]
	v_fma_f64 v[18:19], -v[14:15], v[16:17], 1.0
	s_delay_alu instid0(VALU_DEP_1) | instskip(NEXT) | instid1(VALU_DEP_1)
	v_fmac_f64_e32 v[16:17], v[16:17], v[18:19]
	v_mul_f64_e32 v[18:19], v[22:23], v[16:17]
	s_delay_alu instid0(VALU_DEP_1) | instskip(NEXT) | instid1(VALU_DEP_1)
	v_fma_f64 v[14:15], -v[14:15], v[18:19], v[22:23]
	v_div_fmas_f64 v[14:15], v[14:15], v[16:17], v[18:19]
	s_delay_alu instid0(VALU_DEP_1) | instskip(NEXT) | instid1(VALU_DEP_1)
	v_div_fixup_f64 v[10:11], v[14:15], s[16:17], v[10:11]
	v_cmp_gt_f64_e32 vcc_lo, 0x10000000, v[10:11]
	v_cndmask_b32_e64 v14, 0, 0x100, vcc_lo
	s_delay_alu instid0(VALU_DEP_1) | instskip(NEXT) | instid1(VALU_DEP_1)
	v_ldexp_f64 v[14:15], v[10:11], v14
	v_rsq_f64_e32 v[16:17], v[14:15]
	v_nop
	s_delay_alu instid0(TRANS32_DEP_1) | instskip(SKIP_1) | instid1(VALU_DEP_1)
	v_mul_f64_e32 v[18:19], v[14:15], v[16:17]
	v_mul_f64_e32 v[16:17], 0.5, v[16:17]
	v_fma_f64 v[22:23], -v[16:17], v[18:19], 0.5
	s_delay_alu instid0(VALU_DEP_1) | instskip(SKIP_1) | instid1(VALU_DEP_2)
	v_fmac_f64_e32 v[18:19], v[18:19], v[22:23]
	v_fmac_f64_e32 v[16:17], v[16:17], v[22:23]
	v_fma_f64 v[22:23], -v[18:19], v[18:19], v[14:15]
	s_delay_alu instid0(VALU_DEP_1) | instskip(NEXT) | instid1(VALU_DEP_1)
	v_fmac_f64_e32 v[18:19], v[22:23], v[16:17]
	v_fma_f64 v[22:23], -v[18:19], v[18:19], v[14:15]
	s_delay_alu instid0(VALU_DEP_1) | instskip(SKIP_2) | instid1(VALU_DEP_2)
	v_fmac_f64_e32 v[18:19], v[22:23], v[16:17]
	v_cndmask_b32_e64 v16, 0, 0xffffff80, vcc_lo
	v_cmp_class_f64_e64 vcc_lo, v[14:15], 0x260
	v_ldexp_f64 v[16:17], v[18:19], v16
	s_delay_alu instid0(VALU_DEP_1) | instskip(NEXT) | instid1(VALU_DEP_2)
	v_dual_add_f64 v[18:19], -1.0, v[0:1] :: v_dual_cndmask_b32 v14, v16, v14, vcc_lo
	v_cndmask_b32_e32 v15, v17, v15, vcc_lo
	v_cmp_nge_f64_e32 vcc_lo, s[0:1], v[10:11]
	s_delay_alu instid0(VALU_DEP_3)
	v_cmp_nlt_f64_e64 s0, |v[18:19]|, s[6:7]
	s_wait_kmcnt 0x0
	v_add_nc_u64_e32 v[10:11], s[10:11], v[2:3]
	v_add_nc_u64_e32 v[2:3], s[8:9], v[2:3]
	v_cndmask_b32_e32 v15, 0x3c18987c, v15, vcc_lo
	v_cndmask_b32_e32 v14, 0xee7f439d, v14, vcc_lo
	v_cndmask_b32_e64 v1, 0x3ff00000, v1, s0
	v_cndmask_b32_e64 v0, 0, v0, s0
	global_store_b64 v[8:9], v[24:25], off
	global_store_b64 v[4:5], v[20:21], off
	;; [unrolled: 1-line block ×5, first 2 shown]
.LBB14_16:
	s_endpgm
	.section	.rodata,"a",@progbits
	.p2align	6, 0x0
	.amdhsa_kernel _Z31applyMaterialPropertiesForElemsPKdS0_S0_PKiS2_PdS3_S3_S3_S3_S3_ddddddddddi
		.amdhsa_group_segment_fixed_size 0
		.amdhsa_private_segment_fixed_size 0
		.amdhsa_kernarg_size 432
		.amdhsa_user_sgpr_count 2
		.amdhsa_user_sgpr_dispatch_ptr 0
		.amdhsa_user_sgpr_queue_ptr 0
		.amdhsa_user_sgpr_kernarg_segment_ptr 1
		.amdhsa_user_sgpr_dispatch_id 0
		.amdhsa_user_sgpr_kernarg_preload_length 0
		.amdhsa_user_sgpr_kernarg_preload_offset 0
		.amdhsa_user_sgpr_private_segment_size 0
		.amdhsa_wavefront_size32 1
		.amdhsa_uses_dynamic_stack 0
		.amdhsa_enable_private_segment 0
		.amdhsa_system_sgpr_workgroup_id_x 1
		.amdhsa_system_sgpr_workgroup_id_y 0
		.amdhsa_system_sgpr_workgroup_id_z 0
		.amdhsa_system_sgpr_workgroup_info 0
		.amdhsa_system_vgpr_workitem_id 0
		.amdhsa_next_free_vgpr 42
		.amdhsa_next_free_sgpr 25
		.amdhsa_named_barrier_count 0
		.amdhsa_reserve_vcc 1
		.amdhsa_float_round_mode_32 0
		.amdhsa_float_round_mode_16_64 0
		.amdhsa_float_denorm_mode_32 3
		.amdhsa_float_denorm_mode_16_64 3
		.amdhsa_fp16_overflow 0
		.amdhsa_memory_ordered 1
		.amdhsa_forward_progress 1
		.amdhsa_inst_pref_size 23
		.amdhsa_round_robin_scheduling 0
		.amdhsa_exception_fp_ieee_invalid_op 0
		.amdhsa_exception_fp_denorm_src 0
		.amdhsa_exception_fp_ieee_div_zero 0
		.amdhsa_exception_fp_ieee_overflow 0
		.amdhsa_exception_fp_ieee_underflow 0
		.amdhsa_exception_fp_ieee_inexact 0
		.amdhsa_exception_int_div_zero 0
	.end_amdhsa_kernel
	.text
.Lfunc_end14:
	.size	_Z31applyMaterialPropertiesForElemsPKdS0_S0_PKiS2_PdS3_S3_S3_S3_S3_ddddddddddi, .Lfunc_end14-_Z31applyMaterialPropertiesForElemsPKdS0_S0_PKiS2_PdS3_S3_S3_S3_S3_ddddddddddi
                                        ; -- End function
	.set _Z31applyMaterialPropertiesForElemsPKdS0_S0_PKiS2_PdS3_S3_S3_S3_S3_ddddddddddi.num_vgpr, 42
	.set _Z31applyMaterialPropertiesForElemsPKdS0_S0_PKiS2_PdS3_S3_S3_S3_S3_ddddddddddi.num_agpr, 0
	.set _Z31applyMaterialPropertiesForElemsPKdS0_S0_PKiS2_PdS3_S3_S3_S3_S3_ddddddddddi.numbered_sgpr, 25
	.set _Z31applyMaterialPropertiesForElemsPKdS0_S0_PKiS2_PdS3_S3_S3_S3_S3_ddddddddddi.num_named_barrier, 0
	.set _Z31applyMaterialPropertiesForElemsPKdS0_S0_PKiS2_PdS3_S3_S3_S3_S3_ddddddddddi.private_seg_size, 0
	.set _Z31applyMaterialPropertiesForElemsPKdS0_S0_PKiS2_PdS3_S3_S3_S3_S3_ddddddddddi.uses_vcc, 1
	.set _Z31applyMaterialPropertiesForElemsPKdS0_S0_PKiS2_PdS3_S3_S3_S3_S3_ddddddddddi.uses_flat_scratch, 0
	.set _Z31applyMaterialPropertiesForElemsPKdS0_S0_PKiS2_PdS3_S3_S3_S3_S3_ddddddddddi.has_dyn_sized_stack, 0
	.set _Z31applyMaterialPropertiesForElemsPKdS0_S0_PKiS2_PdS3_S3_S3_S3_S3_ddddddddddi.has_recursion, 0
	.set _Z31applyMaterialPropertiesForElemsPKdS0_S0_PKiS2_PdS3_S3_S3_S3_S3_ddddddddddi.has_indirect_call, 0
	.section	.AMDGPU.csdata,"",@progbits
; Kernel info:
; codeLenInByte = 2820
; TotalNumSgprs: 27
; NumVgprs: 42
; ScratchSize: 0
; MemoryBound: 0
; FloatMode: 240
; IeeeMode: 1
; LDSByteSize: 0 bytes/workgroup (compile time only)
; SGPRBlocks: 0
; VGPRBlocks: 2
; NumSGPRsForWavesPerEU: 27
; NumVGPRsForWavesPerEU: 42
; NamedBarCnt: 0
; Occupancy: 16
; WaveLimiterHint : 0
; COMPUTE_PGM_RSRC2:SCRATCH_EN: 0
; COMPUTE_PGM_RSRC2:USER_SGPR: 2
; COMPUTE_PGM_RSRC2:TRAP_HANDLER: 0
; COMPUTE_PGM_RSRC2:TGID_X_EN: 1
; COMPUTE_PGM_RSRC2:TGID_Y_EN: 0
; COMPUTE_PGM_RSRC2:TGID_Z_EN: 0
; COMPUTE_PGM_RSRC2:TIDIG_COMP_CNT: 0
	.text
	.p2alignl 7, 3214868480
	.fill 96, 4, 3214868480
	.section	.AMDGPU.gpr_maximums,"",@progbits
	.set amdgpu.max_num_vgpr, 0
	.set amdgpu.max_num_agpr, 0
	.set amdgpu.max_num_sgpr, 0
	.text
	.type	__hip_cuid_1524d4722e787941,@object ; @__hip_cuid_1524d4722e787941
	.section	.bss,"aw",@nobits
	.globl	__hip_cuid_1524d4722e787941
__hip_cuid_1524d4722e787941:
	.byte	0                               ; 0x0
	.size	__hip_cuid_1524d4722e787941, 1

	.ident	"AMD clang version 22.0.0git (https://github.com/RadeonOpenCompute/llvm-project roc-7.2.4 26084 f58b06dce1f9c15707c5f808fd002e18c2accf7e)"
	.section	".note.GNU-stack","",@progbits
	.addrsig
	.addrsig_sym __hip_cuid_1524d4722e787941
	.amdgpu_metadata
---
amdhsa.kernels:
  - .args:
      - .actual_access:  write_only
        .address_space:  global
        .offset:         0
        .size:           8
        .value_kind:     global_buffer
      - .actual_access:  write_only
        .address_space:  global
        .offset:         8
        .size:           8
        .value_kind:     global_buffer
      - .actual_access:  write_only
        .address_space:  global
        .offset:         16
        .size:           8
        .value_kind:     global_buffer
      - .actual_access:  read_only
        .address_space:  global
        .offset:         24
        .size:           8
        .value_kind:     global_buffer
      - .actual_access:  read_only
        .address_space:  global
        .offset:         32
        .size:           8
        .value_kind:     global_buffer
      - .offset:         40
        .size:           4
        .value_kind:     by_value
      - .offset:         48
        .size:           4
        .value_kind:     hidden_block_count_x
      - .offset:         52
        .size:           4
        .value_kind:     hidden_block_count_y
      - .offset:         56
        .size:           4
        .value_kind:     hidden_block_count_z
      - .offset:         60
        .size:           2
        .value_kind:     hidden_group_size_x
      - .offset:         62
        .size:           2
        .value_kind:     hidden_group_size_y
      - .offset:         64
        .size:           2
        .value_kind:     hidden_group_size_z
      - .offset:         66
        .size:           2
        .value_kind:     hidden_remainder_x
      - .offset:         68
        .size:           2
        .value_kind:     hidden_remainder_y
      - .offset:         70
        .size:           2
        .value_kind:     hidden_remainder_z
      - .offset:         88
        .size:           8
        .value_kind:     hidden_global_offset_x
      - .offset:         96
        .size:           8
        .value_kind:     hidden_global_offset_y
      - .offset:         104
        .size:           8
        .value_kind:     hidden_global_offset_z
      - .offset:         112
        .size:           2
        .value_kind:     hidden_grid_dims
    .group_segment_fixed_size: 0
    .kernarg_segment_align: 8
    .kernarg_segment_size: 304
    .language:       OpenCL C
    .language_version:
      - 2
      - 0
    .max_flat_workgroup_size: 1024
    .name:           _Z8fill_sigPdS_S_PKdS1_i
    .private_segment_fixed_size: 0
    .sgpr_count:     12
    .sgpr_spill_count: 0
    .symbol:         _Z8fill_sigPdS_S_PKdS1_i.kd
    .uniform_work_group_size: 1
    .uses_dynamic_stack: false
    .vgpr_count:     6
    .vgpr_spill_count: 0
    .wavefront_size: 32
  - .args:
      - .actual_access:  write_only
        .address_space:  global
        .offset:         0
        .size:           8
        .value_kind:     global_buffer
      - .actual_access:  write_only
        .address_space:  global
        .offset:         8
        .size:           8
        .value_kind:     global_buffer
      - .actual_access:  write_only
        .address_space:  global
        .offset:         16
        .size:           8
        .value_kind:     global_buffer
      - .actual_access:  read_only
        .address_space:  global
        .offset:         24
        .size:           8
        .value_kind:     global_buffer
      - .actual_access:  read_only
        .address_space:  global
        .offset:         32
        .size:           8
        .value_kind:     global_buffer
      - .actual_access:  read_only
        .address_space:  global
        .offset:         40
        .size:           8
        .value_kind:     global_buffer
      - .actual_access:  read_only
        .address_space:  global
        .offset:         48
        .size:           8
        .value_kind:     global_buffer
      - .actual_access:  read_only
        .address_space:  global
        .offset:         56
        .size:           8
        .value_kind:     global_buffer
      - .actual_access:  read_only
        .address_space:  global
        .offset:         64
        .size:           8
        .value_kind:     global_buffer
      - .actual_access:  read_only
        .address_space:  global
        .offset:         72
        .size:           8
        .value_kind:     global_buffer
      - .actual_access:  write_only
        .address_space:  global
        .offset:         80
        .size:           8
        .value_kind:     global_buffer
      - .offset:         88
        .size:           4
        .value_kind:     by_value
      - .offset:         96
        .size:           4
        .value_kind:     hidden_block_count_x
      - .offset:         100
        .size:           4
        .value_kind:     hidden_block_count_y
      - .offset:         104
        .size:           4
        .value_kind:     hidden_block_count_z
      - .offset:         108
        .size:           2
        .value_kind:     hidden_group_size_x
      - .offset:         110
        .size:           2
        .value_kind:     hidden_group_size_y
      - .offset:         112
        .size:           2
        .value_kind:     hidden_group_size_z
      - .offset:         114
        .size:           2
        .value_kind:     hidden_remainder_x
      - .offset:         116
        .size:           2
        .value_kind:     hidden_remainder_y
      - .offset:         118
        .size:           2
        .value_kind:     hidden_remainder_z
      - .offset:         136
        .size:           8
        .value_kind:     hidden_global_offset_x
      - .offset:         144
        .size:           8
        .value_kind:     hidden_global_offset_y
      - .offset:         152
        .size:           8
        .value_kind:     hidden_global_offset_z
      - .offset:         160
        .size:           2
        .value_kind:     hidden_grid_dims
    .group_segment_fixed_size: 0
    .kernarg_segment_align: 8
    .kernarg_segment_size: 352
    .language:       OpenCL C
    .language_version:
      - 2
      - 0
    .max_flat_workgroup_size: 1024
    .name:           _Z15integrateStressPdS_S_PKdS1_S1_PKiS1_S1_S1_S_i
    .private_segment_fixed_size: 0
    .sgpr_count:     20
    .sgpr_spill_count: 0
    .symbol:         _Z15integrateStressPdS_S_PKdS1_S1_PKiS1_S1_S1_S_i.kd
    .uniform_work_group_size: 1
    .uses_dynamic_stack: false
    .vgpr_count:     108
    .vgpr_spill_count: 0
    .wavefront_size: 32
  - .args:
      - .actual_access:  read_only
        .address_space:  global
        .offset:         0
        .size:           8
        .value_kind:     global_buffer
      - .actual_access:  read_only
        .address_space:  global
        .offset:         8
        .size:           8
        .value_kind:     global_buffer
      - .actual_access:  read_only
        .address_space:  global
        .offset:         16
        .size:           8
        .value_kind:     global_buffer
      - .actual_access:  write_only
        .address_space:  global
        .offset:         24
        .size:           8
        .value_kind:     global_buffer
      - .actual_access:  write_only
        .address_space:  global
        .offset:         32
        .size:           8
        .value_kind:     global_buffer
      - .actual_access:  write_only
        .address_space:  global
        .offset:         40
        .size:           8
        .value_kind:     global_buffer
      - .actual_access:  read_only
        .address_space:  global
        .offset:         48
        .size:           8
        .value_kind:     global_buffer
      - .actual_access:  read_only
        .address_space:  global
        .offset:         56
        .size:           8
        .value_kind:     global_buffer
      - .offset:         64
        .size:           4
        .value_kind:     by_value
      - .offset:         72
        .size:           4
        .value_kind:     hidden_block_count_x
      - .offset:         76
        .size:           4
        .value_kind:     hidden_block_count_y
      - .offset:         80
        .size:           4
        .value_kind:     hidden_block_count_z
      - .offset:         84
        .size:           2
        .value_kind:     hidden_group_size_x
      - .offset:         86
        .size:           2
        .value_kind:     hidden_group_size_y
      - .offset:         88
        .size:           2
        .value_kind:     hidden_group_size_z
      - .offset:         90
        .size:           2
        .value_kind:     hidden_remainder_x
      - .offset:         92
        .size:           2
        .value_kind:     hidden_remainder_y
      - .offset:         94
        .size:           2
        .value_kind:     hidden_remainder_z
      - .offset:         112
        .size:           8
        .value_kind:     hidden_global_offset_x
      - .offset:         120
        .size:           8
        .value_kind:     hidden_global_offset_y
      - .offset:         128
        .size:           8
        .value_kind:     hidden_global_offset_z
      - .offset:         136
        .size:           2
        .value_kind:     hidden_grid_dims
    .group_segment_fixed_size: 0
    .kernarg_segment_align: 8
    .kernarg_segment_size: 328
    .language:       OpenCL C
    .language_version:
      - 2
      - 0
    .max_flat_workgroup_size: 1024
    .name:           _Z15acc_final_forcePKdS0_S0_PdS1_S1_PKiS3_i
    .private_segment_fixed_size: 0
    .sgpr_count:     14
    .sgpr_spill_count: 0
    .symbol:         _Z15acc_final_forcePKdS0_S0_PdS1_S1_PKiS3_i.kd
    .uniform_work_group_size: 1
    .uses_dynamic_stack: false
    .vgpr_count:     18
    .vgpr_spill_count: 0
    .wavefront_size: 32
  - .args:
      - .actual_access:  write_only
        .address_space:  global
        .offset:         0
        .size:           8
        .value_kind:     global_buffer
      - .actual_access:  write_only
        .address_space:  global
        .offset:         8
        .size:           8
        .value_kind:     global_buffer
      - .actual_access:  write_only
        .address_space:  global
        .offset:         16
        .size:           8
        .value_kind:     global_buffer
      - .actual_access:  write_only
        .address_space:  global
        .offset:         24
        .size:           8
        .value_kind:     global_buffer
      - .actual_access:  write_only
        .address_space:  global
        .offset:         32
        .size:           8
        .value_kind:     global_buffer
      - .actual_access:  write_only
        .address_space:  global
        .offset:         40
        .size:           8
        .value_kind:     global_buffer
      - .actual_access:  write_only
        .address_space:  global
        .offset:         48
        .size:           8
        .value_kind:     global_buffer
      - .actual_access:  read_only
        .address_space:  global
        .offset:         56
        .size:           8
        .value_kind:     global_buffer
      - .actual_access:  read_only
        .address_space:  global
        .offset:         64
        .size:           8
        .value_kind:     global_buffer
      - .actual_access:  read_only
        .address_space:  global
        .offset:         72
        .size:           8
        .value_kind:     global_buffer
      - .actual_access:  read_only
        .address_space:  global
        .offset:         80
        .size:           8
        .value_kind:     global_buffer
      - .actual_access:  read_only
        .address_space:  global
        .offset:         88
        .size:           8
        .value_kind:     global_buffer
      - .actual_access:  read_only
        .address_space:  global
        .offset:         96
        .size:           8
        .value_kind:     global_buffer
      - .actual_access:  write_only
        .address_space:  global
        .offset:         104
        .size:           8
        .value_kind:     global_buffer
      - .offset:         112
        .size:           4
        .value_kind:     by_value
      - .offset:         120
        .size:           4
        .value_kind:     hidden_block_count_x
      - .offset:         124
        .size:           4
        .value_kind:     hidden_block_count_y
      - .offset:         128
        .size:           4
        .value_kind:     hidden_block_count_z
      - .offset:         132
        .size:           2
        .value_kind:     hidden_group_size_x
      - .offset:         134
        .size:           2
        .value_kind:     hidden_group_size_y
      - .offset:         136
        .size:           2
        .value_kind:     hidden_group_size_z
      - .offset:         138
        .size:           2
        .value_kind:     hidden_remainder_x
      - .offset:         140
        .size:           2
        .value_kind:     hidden_remainder_y
      - .offset:         142
        .size:           2
        .value_kind:     hidden_remainder_z
      - .offset:         160
        .size:           8
        .value_kind:     hidden_global_offset_x
      - .offset:         168
        .size:           8
        .value_kind:     hidden_global_offset_y
      - .offset:         176
        .size:           8
        .value_kind:     hidden_global_offset_z
      - .offset:         184
        .size:           2
        .value_kind:     hidden_grid_dims
    .group_segment_fixed_size: 0
    .kernarg_segment_align: 8
    .kernarg_segment_size: 376
    .language:       OpenCL C
    .language_version:
      - 2
      - 0
    .max_flat_workgroup_size: 1024
    .name:           _Z3hgcPdS_S_S_S_S_S_PKdS1_S1_PKiS1_S1_Pii
    .private_segment_fixed_size: 0
    .sgpr_count:     30
    .sgpr_spill_count: 0
    .symbol:         _Z3hgcPdS_S_S_S_S_S_PKdS1_S1_PKiS1_S1_Pii.kd
    .uniform_work_group_size: 1
    .uses_dynamic_stack: false
    .vgpr_count:     126
    .vgpr_spill_count: 0
    .wavefront_size: 32
  - .args:
      - .actual_access:  read_only
        .address_space:  global
        .offset:         0
        .size:           8
        .value_kind:     global_buffer
      - .actual_access:  read_only
        .address_space:  global
        .offset:         8
        .size:           8
        .value_kind:     global_buffer
      - .actual_access:  read_only
        .address_space:  global
        .offset:         16
        .size:           8
        .value_kind:     global_buffer
      - .actual_access:  read_only
        .address_space:  global
        .offset:         24
        .size:           8
        .value_kind:     global_buffer
      - .actual_access:  read_only
        .address_space:  global
        .offset:         32
        .size:           8
        .value_kind:     global_buffer
      - .actual_access:  read_only
        .address_space:  global
        .offset:         40
        .size:           8
        .value_kind:     global_buffer
      - .actual_access:  read_only
        .address_space:  global
        .offset:         48
        .size:           8
        .value_kind:     global_buffer
      - .actual_access:  read_only
        .address_space:  global
        .offset:         56
        .size:           8
        .value_kind:     global_buffer
      - .actual_access:  read_only
        .address_space:  global
        .offset:         64
        .size:           8
        .value_kind:     global_buffer
      - .actual_access:  read_only
        .address_space:  global
        .offset:         72
        .size:           8
        .value_kind:     global_buffer
      - .actual_access:  read_only
        .address_space:  global
        .offset:         80
        .size:           8
        .value_kind:     global_buffer
      - .actual_access:  read_only
        .address_space:  global
        .offset:         88
        .size:           8
        .value_kind:     global_buffer
      - .actual_access:  read_only
        .address_space:  global
        .offset:         96
        .size:           8
        .value_kind:     global_buffer
      - .actual_access:  read_only
        .address_space:  global
        .offset:         104
        .size:           8
        .value_kind:     global_buffer
      - .actual_access:  write_only
        .address_space:  global
        .offset:         112
        .size:           8
        .value_kind:     global_buffer
      - .actual_access:  write_only
        .address_space:  global
        .offset:         120
        .size:           8
        .value_kind:     global_buffer
      - .actual_access:  write_only
        .address_space:  global
        .offset:         128
        .size:           8
        .value_kind:     global_buffer
      - .offset:         136
        .size:           8
        .value_kind:     by_value
      - .offset:         144
        .size:           4
        .value_kind:     by_value
      - .offset:         152
        .size:           4
        .value_kind:     hidden_block_count_x
      - .offset:         156
        .size:           4
        .value_kind:     hidden_block_count_y
      - .offset:         160
        .size:           4
        .value_kind:     hidden_block_count_z
      - .offset:         164
        .size:           2
        .value_kind:     hidden_group_size_x
      - .offset:         166
        .size:           2
        .value_kind:     hidden_group_size_y
      - .offset:         168
        .size:           2
        .value_kind:     hidden_group_size_z
      - .offset:         170
        .size:           2
        .value_kind:     hidden_remainder_x
      - .offset:         172
        .size:           2
        .value_kind:     hidden_remainder_y
      - .offset:         174
        .size:           2
        .value_kind:     hidden_remainder_z
      - .offset:         192
        .size:           8
        .value_kind:     hidden_global_offset_x
      - .offset:         200
        .size:           8
        .value_kind:     hidden_global_offset_y
      - .offset:         208
        .size:           8
        .value_kind:     hidden_global_offset_z
      - .offset:         216
        .size:           2
        .value_kind:     hidden_grid_dims
    .group_segment_fixed_size: 0
    .kernarg_segment_align: 8
    .kernarg_segment_size: 408
    .language:       OpenCL C
    .language_version:
      - 2
      - 0
    .max_flat_workgroup_size: 1024
    .name:           _Z2fbPKdS0_S0_S0_S0_S0_S0_S0_S0_S0_S0_S0_PKiS0_PdS3_S3_di
    .private_segment_fixed_size: 100
    .sgpr_count:     94
    .sgpr_spill_count: 0
    .symbol:         _Z2fbPKdS0_S0_S0_S0_S0_S0_S0_S0_S0_S0_S0_PKiS0_PdS3_S3_di.kd
    .uniform_work_group_size: 1
    .uses_dynamic_stack: false
    .vgpr_count:     128
    .vgpr_spill_count: 24
    .wavefront_size: 32
  - .args:
      - .actual_access:  read_only
        .address_space:  global
        .offset:         0
        .size:           8
        .value_kind:     global_buffer
      - .actual_access:  read_only
        .address_space:  global
        .offset:         8
        .size:           8
        .value_kind:     global_buffer
      - .actual_access:  read_only
        .address_space:  global
        .offset:         16
        .size:           8
        .value_kind:     global_buffer
      - .actual_access:  write_only
        .address_space:  global
        .offset:         24
        .size:           8
        .value_kind:     global_buffer
      - .actual_access:  write_only
        .address_space:  global
        .offset:         32
        .size:           8
        .value_kind:     global_buffer
      - .actual_access:  write_only
        .address_space:  global
        .offset:         40
        .size:           8
        .value_kind:     global_buffer
      - .actual_access:  read_only
        .address_space:  global
        .offset:         48
        .size:           8
        .value_kind:     global_buffer
      - .actual_access:  read_only
        .address_space:  global
        .offset:         56
        .size:           8
        .value_kind:     global_buffer
      - .offset:         64
        .size:           4
        .value_kind:     by_value
      - .offset:         72
        .size:           4
        .value_kind:     hidden_block_count_x
      - .offset:         76
        .size:           4
        .value_kind:     hidden_block_count_y
      - .offset:         80
        .size:           4
        .value_kind:     hidden_block_count_z
      - .offset:         84
        .size:           2
        .value_kind:     hidden_group_size_x
      - .offset:         86
        .size:           2
        .value_kind:     hidden_group_size_y
      - .offset:         88
        .size:           2
        .value_kind:     hidden_group_size_z
      - .offset:         90
        .size:           2
        .value_kind:     hidden_remainder_x
      - .offset:         92
        .size:           2
        .value_kind:     hidden_remainder_y
      - .offset:         94
        .size:           2
        .value_kind:     hidden_remainder_z
      - .offset:         112
        .size:           8
        .value_kind:     hidden_global_offset_x
      - .offset:         120
        .size:           8
        .value_kind:     hidden_global_offset_y
      - .offset:         128
        .size:           8
        .value_kind:     hidden_global_offset_z
      - .offset:         136
        .size:           2
        .value_kind:     hidden_grid_dims
    .group_segment_fixed_size: 0
    .kernarg_segment_align: 8
    .kernarg_segment_size: 328
    .language:       OpenCL C
    .language_version:
      - 2
      - 0
    .max_flat_workgroup_size: 1024
    .name:           _Z19collect_final_forcePKdS0_S0_PdS1_S1_PKiS3_i
    .private_segment_fixed_size: 0
    .sgpr_count:     14
    .sgpr_spill_count: 0
    .symbol:         _Z19collect_final_forcePKdS0_S0_PdS1_S1_PKiS3_i.kd
    .uniform_work_group_size: 1
    .uses_dynamic_stack: false
    .vgpr_count:     18
    .vgpr_spill_count: 0
    .wavefront_size: 32
  - .args:
      - .actual_access:  read_only
        .address_space:  global
        .offset:         0
        .size:           8
        .value_kind:     global_buffer
      - .actual_access:  read_only
        .address_space:  global
        .offset:         8
        .size:           8
        .value_kind:     global_buffer
      - .actual_access:  read_only
        .address_space:  global
        .offset:         16
        .size:           8
        .value_kind:     global_buffer
      - .actual_access:  read_only
        .address_space:  global
        .offset:         24
        .size:           8
        .value_kind:     global_buffer
      - .actual_access:  write_only
        .address_space:  global
        .offset:         32
        .size:           8
        .value_kind:     global_buffer
      - .actual_access:  write_only
        .address_space:  global
        .offset:         40
        .size:           8
        .value_kind:     global_buffer
      - .actual_access:  write_only
        .address_space:  global
        .offset:         48
        .size:           8
        .value_kind:     global_buffer
      - .offset:         56
        .size:           4
        .value_kind:     by_value
      - .offset:         64
        .size:           4
        .value_kind:     hidden_block_count_x
      - .offset:         68
        .size:           4
        .value_kind:     hidden_block_count_y
      - .offset:         72
        .size:           4
        .value_kind:     hidden_block_count_z
      - .offset:         76
        .size:           2
        .value_kind:     hidden_group_size_x
      - .offset:         78
        .size:           2
        .value_kind:     hidden_group_size_y
      - .offset:         80
        .size:           2
        .value_kind:     hidden_group_size_z
      - .offset:         82
        .size:           2
        .value_kind:     hidden_remainder_x
      - .offset:         84
        .size:           2
        .value_kind:     hidden_remainder_y
      - .offset:         86
        .size:           2
        .value_kind:     hidden_remainder_z
      - .offset:         104
        .size:           8
        .value_kind:     hidden_global_offset_x
      - .offset:         112
        .size:           8
        .value_kind:     hidden_global_offset_y
      - .offset:         120
        .size:           8
        .value_kind:     hidden_global_offset_z
      - .offset:         128
        .size:           2
        .value_kind:     hidden_grid_dims
    .group_segment_fixed_size: 0
    .kernarg_segment_align: 8
    .kernarg_segment_size: 320
    .language:       OpenCL C
    .language_version:
      - 2
      - 0
    .max_flat_workgroup_size: 1024
    .name:           _Z19accelerationForNodePKdS0_S0_S0_PdS1_S1_i
    .private_segment_fixed_size: 0
    .sgpr_count:     14
    .sgpr_spill_count: 0
    .symbol:         _Z19accelerationForNodePKdS0_S0_S0_PdS1_S1_i.kd
    .uniform_work_group_size: 1
    .uses_dynamic_stack: false
    .vgpr_count:     18
    .vgpr_spill_count: 0
    .wavefront_size: 32
  - .args:
      - .actual_access:  read_only
        .address_space:  global
        .offset:         0
        .size:           8
        .value_kind:     global_buffer
      - .actual_access:  read_only
        .address_space:  global
        .offset:         8
        .size:           8
        .value_kind:     global_buffer
      - .actual_access:  read_only
        .address_space:  global
        .offset:         16
        .size:           8
        .value_kind:     global_buffer
      - .actual_access:  write_only
        .address_space:  global
        .offset:         24
        .size:           8
        .value_kind:     global_buffer
      - .actual_access:  write_only
        .address_space:  global
        .offset:         32
        .size:           8
        .value_kind:     global_buffer
      - .actual_access:  write_only
        .address_space:  global
        .offset:         40
        .size:           8
        .value_kind:     global_buffer
      - .offset:         48
        .size:           4
        .value_kind:     by_value
      - .offset:         52
        .size:           4
        .value_kind:     by_value
      - .offset:         56
        .size:           4
        .value_kind:     by_value
      - .offset:         60
        .size:           4
        .value_kind:     by_value
      - .offset:         64
        .size:           4
        .value_kind:     hidden_block_count_x
      - .offset:         68
        .size:           4
        .value_kind:     hidden_block_count_y
      - .offset:         72
        .size:           4
        .value_kind:     hidden_block_count_z
      - .offset:         76
        .size:           2
        .value_kind:     hidden_group_size_x
      - .offset:         78
        .size:           2
        .value_kind:     hidden_group_size_y
      - .offset:         80
        .size:           2
        .value_kind:     hidden_group_size_z
      - .offset:         82
        .size:           2
        .value_kind:     hidden_remainder_x
      - .offset:         84
        .size:           2
        .value_kind:     hidden_remainder_y
      - .offset:         86
        .size:           2
        .value_kind:     hidden_remainder_z
      - .offset:         104
        .size:           8
        .value_kind:     hidden_global_offset_x
      - .offset:         112
        .size:           8
        .value_kind:     hidden_global_offset_y
      - .offset:         120
        .size:           8
        .value_kind:     hidden_global_offset_z
      - .offset:         128
        .size:           2
        .value_kind:     hidden_grid_dims
    .group_segment_fixed_size: 0
    .kernarg_segment_align: 8
    .kernarg_segment_size: 320
    .language:       OpenCL C
    .language_version:
      - 2
      - 0
    .max_flat_workgroup_size: 1024
    .name:           _Z43applyAccelerationBoundaryConditionsForNodesPKiS0_S0_PdS1_S1_iiii
    .private_segment_fixed_size: 0
    .sgpr_count:     10
    .sgpr_spill_count: 0
    .symbol:         _Z43applyAccelerationBoundaryConditionsForNodesPKiS0_S0_PdS1_S1_iiii.kd
    .uniform_work_group_size: 1
    .uses_dynamic_stack: false
    .vgpr_count:     4
    .vgpr_spill_count: 0
    .wavefront_size: 32
  - .args:
      - .address_space:  global
        .offset:         0
        .size:           8
        .value_kind:     global_buffer
      - .address_space:  global
        .offset:         8
        .size:           8
        .value_kind:     global_buffer
      - .address_space:  global
        .offset:         16
        .size:           8
        .value_kind:     global_buffer
      - .actual_access:  read_only
        .address_space:  global
        .offset:         24
        .size:           8
        .value_kind:     global_buffer
      - .actual_access:  read_only
        .address_space:  global
        .offset:         32
        .size:           8
        .value_kind:     global_buffer
      - .actual_access:  read_only
        .address_space:  global
        .offset:         40
        .size:           8
        .value_kind:     global_buffer
      - .offset:         48
        .size:           8
        .value_kind:     by_value
      - .offset:         56
        .size:           8
        .value_kind:     by_value
      - .offset:         64
        .size:           4
        .value_kind:     by_value
      - .offset:         72
        .size:           4
        .value_kind:     hidden_block_count_x
      - .offset:         76
        .size:           4
        .value_kind:     hidden_block_count_y
      - .offset:         80
        .size:           4
        .value_kind:     hidden_block_count_z
      - .offset:         84
        .size:           2
        .value_kind:     hidden_group_size_x
      - .offset:         86
        .size:           2
        .value_kind:     hidden_group_size_y
      - .offset:         88
        .size:           2
        .value_kind:     hidden_group_size_z
      - .offset:         90
        .size:           2
        .value_kind:     hidden_remainder_x
      - .offset:         92
        .size:           2
        .value_kind:     hidden_remainder_y
      - .offset:         94
        .size:           2
        .value_kind:     hidden_remainder_z
      - .offset:         112
        .size:           8
        .value_kind:     hidden_global_offset_x
      - .offset:         120
        .size:           8
        .value_kind:     hidden_global_offset_y
      - .offset:         128
        .size:           8
        .value_kind:     hidden_global_offset_z
      - .offset:         136
        .size:           2
        .value_kind:     hidden_grid_dims
    .group_segment_fixed_size: 0
    .kernarg_segment_align: 8
    .kernarg_segment_size: 328
    .language:       OpenCL C
    .language_version:
      - 2
      - 0
    .max_flat_workgroup_size: 1024
    .name:           _Z20calcVelocityForNodesPdS_S_PKdS1_S1_ddi
    .private_segment_fixed_size: 0
    .sgpr_count:     22
    .sgpr_spill_count: 0
    .symbol:         _Z20calcVelocityForNodesPdS_S_PKdS1_S1_ddi.kd
    .uniform_work_group_size: 1
    .uses_dynamic_stack: false
    .vgpr_count:     14
    .vgpr_spill_count: 0
    .wavefront_size: 32
  - .args:
      - .address_space:  global
        .offset:         0
        .size:           8
        .value_kind:     global_buffer
      - .address_space:  global
        .offset:         8
        .size:           8
        .value_kind:     global_buffer
      - .address_space:  global
        .offset:         16
        .size:           8
        .value_kind:     global_buffer
      - .actual_access:  read_only
        .address_space:  global
        .offset:         24
        .size:           8
        .value_kind:     global_buffer
      - .actual_access:  read_only
        .address_space:  global
        .offset:         32
        .size:           8
        .value_kind:     global_buffer
      - .actual_access:  read_only
        .address_space:  global
        .offset:         40
        .size:           8
        .value_kind:     global_buffer
      - .offset:         48
        .size:           8
        .value_kind:     by_value
      - .offset:         56
        .size:           4
        .value_kind:     by_value
      - .offset:         64
        .size:           4
        .value_kind:     hidden_block_count_x
      - .offset:         68
        .size:           4
        .value_kind:     hidden_block_count_y
      - .offset:         72
        .size:           4
        .value_kind:     hidden_block_count_z
      - .offset:         76
        .size:           2
        .value_kind:     hidden_group_size_x
      - .offset:         78
        .size:           2
        .value_kind:     hidden_group_size_y
      - .offset:         80
        .size:           2
        .value_kind:     hidden_group_size_z
      - .offset:         82
        .size:           2
        .value_kind:     hidden_remainder_x
      - .offset:         84
        .size:           2
        .value_kind:     hidden_remainder_y
      - .offset:         86
        .size:           2
        .value_kind:     hidden_remainder_z
      - .offset:         104
        .size:           8
        .value_kind:     hidden_global_offset_x
      - .offset:         112
        .size:           8
        .value_kind:     hidden_global_offset_y
      - .offset:         120
        .size:           8
        .value_kind:     hidden_global_offset_z
      - .offset:         128
        .size:           2
        .value_kind:     hidden_grid_dims
    .group_segment_fixed_size: 0
    .kernarg_segment_align: 8
    .kernarg_segment_size: 320
    .language:       OpenCL C
    .language_version:
      - 2
      - 0
    .max_flat_workgroup_size: 1024
    .name:           _Z20calcPositionForNodesPdS_S_PKdS1_S1_di
    .private_segment_fixed_size: 0
    .sgpr_count:     16
    .sgpr_spill_count: 0
    .symbol:         _Z20calcPositionForNodesPdS_S_PKdS1_S1_di.kd
    .uniform_work_group_size: 1
    .uses_dynamic_stack: false
    .vgpr_count:     14
    .vgpr_spill_count: 0
    .wavefront_size: 32
  - .args:
      - .actual_access:  read_only
        .address_space:  global
        .offset:         0
        .size:           8
        .value_kind:     global_buffer
      - .actual_access:  read_only
        .address_space:  global
        .offset:         8
        .size:           8
        .value_kind:     global_buffer
      - .actual_access:  read_only
        .address_space:  global
        .offset:         16
        .size:           8
        .value_kind:     global_buffer
      - .actual_access:  read_only
        .address_space:  global
        .offset:         24
        .size:           8
        .value_kind:     global_buffer
      - .actual_access:  read_only
        .address_space:  global
        .offset:         32
        .size:           8
        .value_kind:     global_buffer
      - .actual_access:  read_only
        .address_space:  global
        .offset:         40
        .size:           8
        .value_kind:     global_buffer
      - .actual_access:  read_only
        .address_space:  global
        .offset:         48
        .size:           8
        .value_kind:     global_buffer
      - .actual_access:  read_only
        .address_space:  global
        .offset:         56
        .size:           8
        .value_kind:     global_buffer
      - .actual_access:  read_only
        .address_space:  global
        .offset:         64
        .size:           8
        .value_kind:     global_buffer
      - .actual_access:  write_only
        .address_space:  global
        .offset:         72
        .size:           8
        .value_kind:     global_buffer
      - .actual_access:  write_only
        .address_space:  global
        .offset:         80
        .size:           8
        .value_kind:     global_buffer
      - .actual_access:  write_only
        .address_space:  global
        .offset:         88
        .size:           8
        .value_kind:     global_buffer
      - .actual_access:  write_only
        .address_space:  global
        .offset:         96
        .size:           8
        .value_kind:     global_buffer
      - .actual_access:  write_only
        .address_space:  global
        .offset:         104
        .size:           8
        .value_kind:     global_buffer
      - .actual_access:  write_only
        .address_space:  global
        .offset:         112
        .size:           8
        .value_kind:     global_buffer
      - .offset:         120
        .size:           8
        .value_kind:     by_value
      - .offset:         128
        .size:           4
        .value_kind:     by_value
      - .offset:         136
        .size:           4
        .value_kind:     hidden_block_count_x
      - .offset:         140
        .size:           4
        .value_kind:     hidden_block_count_y
      - .offset:         144
        .size:           4
        .value_kind:     hidden_block_count_z
      - .offset:         148
        .size:           2
        .value_kind:     hidden_group_size_x
      - .offset:         150
        .size:           2
        .value_kind:     hidden_group_size_y
      - .offset:         152
        .size:           2
        .value_kind:     hidden_group_size_z
      - .offset:         154
        .size:           2
        .value_kind:     hidden_remainder_x
      - .offset:         156
        .size:           2
        .value_kind:     hidden_remainder_y
      - .offset:         158
        .size:           2
        .value_kind:     hidden_remainder_z
      - .offset:         176
        .size:           8
        .value_kind:     hidden_global_offset_x
      - .offset:         184
        .size:           8
        .value_kind:     hidden_global_offset_y
      - .offset:         192
        .size:           8
        .value_kind:     hidden_global_offset_z
      - .offset:         200
        .size:           2
        .value_kind:     hidden_grid_dims
    .group_segment_fixed_size: 0
    .kernarg_segment_align: 8
    .kernarg_segment_size: 392
    .language:       OpenCL C
    .language_version:
      - 2
      - 0
    .max_flat_workgroup_size: 1024
    .name:           _Z22calcKinematicsForElemsPKdS0_S0_S0_S0_S0_PKiS0_S0_PdS3_S3_S3_S3_S3_di
    .private_segment_fixed_size: 28
    .sgpr_count:     22
    .sgpr_spill_count: 0
    .symbol:         _Z22calcKinematicsForElemsPKdS0_S0_S0_S0_S0_PKiS0_S0_PdS3_S3_S3_S3_S3_di.kd
    .uniform_work_group_size: 1
    .uses_dynamic_stack: false
    .vgpr_count:     128
    .vgpr_spill_count: 6
    .wavefront_size: 32
  - .args:
      - .address_space:  global
        .offset:         0
        .size:           8
        .value_kind:     global_buffer
      - .address_space:  global
        .offset:         8
        .size:           8
        .value_kind:     global_buffer
      - .address_space:  global
        .offset:         16
        .size:           8
        .value_kind:     global_buffer
      - .actual_access:  read_only
        .address_space:  global
        .offset:         24
        .size:           8
        .value_kind:     global_buffer
      - .actual_access:  write_only
        .address_space:  global
        .offset:         32
        .size:           8
        .value_kind:     global_buffer
      - .actual_access:  write_only
        .address_space:  global
        .offset:         40
        .size:           8
        .value_kind:     global_buffer
      - .offset:         48
        .size:           4
        .value_kind:     by_value
      - .offset:         56
        .size:           4
        .value_kind:     hidden_block_count_x
      - .offset:         60
        .size:           4
        .value_kind:     hidden_block_count_y
      - .offset:         64
        .size:           4
        .value_kind:     hidden_block_count_z
      - .offset:         68
        .size:           2
        .value_kind:     hidden_group_size_x
      - .offset:         70
        .size:           2
        .value_kind:     hidden_group_size_y
      - .offset:         72
        .size:           2
        .value_kind:     hidden_group_size_z
      - .offset:         74
        .size:           2
        .value_kind:     hidden_remainder_x
      - .offset:         76
        .size:           2
        .value_kind:     hidden_remainder_y
      - .offset:         78
        .size:           2
        .value_kind:     hidden_remainder_z
      - .offset:         96
        .size:           8
        .value_kind:     hidden_global_offset_x
      - .offset:         104
        .size:           8
        .value_kind:     hidden_global_offset_y
      - .offset:         112
        .size:           8
        .value_kind:     hidden_global_offset_z
      - .offset:         120
        .size:           2
        .value_kind:     hidden_grid_dims
    .group_segment_fixed_size: 0
    .kernarg_segment_align: 8
    .kernarg_segment_size: 312
    .language:       OpenCL C
    .language_version:
      - 2
      - 0
    .max_flat_workgroup_size: 1024
    .name:           _Z15calcStrainRatesPdS_S_PKdS_Pii
    .private_segment_fixed_size: 0
    .sgpr_count:     14
    .sgpr_spill_count: 0
    .symbol:         _Z15calcStrainRatesPdS_S_PKdS_Pii.kd
    .uniform_work_group_size: 1
    .uses_dynamic_stack: false
    .vgpr_count:     20
    .vgpr_spill_count: 0
    .wavefront_size: 32
  - .args:
      - .actual_access:  read_only
        .address_space:  global
        .offset:         0
        .size:           8
        .value_kind:     global_buffer
      - .actual_access:  read_only
        .address_space:  global
        .offset:         8
        .size:           8
        .value_kind:     global_buffer
      - .actual_access:  read_only
        .address_space:  global
        .offset:         16
        .size:           8
        .value_kind:     global_buffer
      - .actual_access:  read_only
        .address_space:  global
        .offset:         24
        .size:           8
        .value_kind:     global_buffer
      - .actual_access:  read_only
        .address_space:  global
        .offset:         32
        .size:           8
        .value_kind:     global_buffer
      - .actual_access:  read_only
        .address_space:  global
        .offset:         40
        .size:           8
        .value_kind:     global_buffer
      - .actual_access:  read_only
        .address_space:  global
        .offset:         48
        .size:           8
        .value_kind:     global_buffer
      - .actual_access:  read_only
        .address_space:  global
        .offset:         56
        .size:           8
        .value_kind:     global_buffer
      - .actual_access:  write_only
        .address_space:  global
        .offset:         64
        .size:           8
        .value_kind:     global_buffer
      - .actual_access:  write_only
        .address_space:  global
        .offset:         72
        .size:           8
        .value_kind:     global_buffer
      - .actual_access:  write_only
        .address_space:  global
        .offset:         80
        .size:           8
        .value_kind:     global_buffer
      - .actual_access:  write_only
        .address_space:  global
        .offset:         88
        .size:           8
        .value_kind:     global_buffer
      - .actual_access:  write_only
        .address_space:  global
        .offset:         96
        .size:           8
        .value_kind:     global_buffer
      - .actual_access:  write_only
        .address_space:  global
        .offset:         104
        .size:           8
        .value_kind:     global_buffer
      - .actual_access:  read_only
        .address_space:  global
        .offset:         112
        .size:           8
        .value_kind:     global_buffer
      - .offset:         120
        .size:           4
        .value_kind:     by_value
      - .offset:         128
        .size:           4
        .value_kind:     hidden_block_count_x
      - .offset:         132
        .size:           4
        .value_kind:     hidden_block_count_y
      - .offset:         136
        .size:           4
        .value_kind:     hidden_block_count_z
      - .offset:         140
        .size:           2
        .value_kind:     hidden_group_size_x
      - .offset:         142
        .size:           2
        .value_kind:     hidden_group_size_y
      - .offset:         144
        .size:           2
        .value_kind:     hidden_group_size_z
      - .offset:         146
        .size:           2
        .value_kind:     hidden_remainder_x
      - .offset:         148
        .size:           2
        .value_kind:     hidden_remainder_y
      - .offset:         150
        .size:           2
        .value_kind:     hidden_remainder_z
      - .offset:         168
        .size:           8
        .value_kind:     hidden_global_offset_x
      - .offset:         176
        .size:           8
        .value_kind:     hidden_global_offset_y
      - .offset:         184
        .size:           8
        .value_kind:     hidden_global_offset_z
      - .offset:         192
        .size:           2
        .value_kind:     hidden_grid_dims
    .group_segment_fixed_size: 0
    .kernarg_segment_align: 8
    .kernarg_segment_size: 384
    .language:       OpenCL C
    .language_version:
      - 2
      - 0
    .max_flat_workgroup_size: 1024
    .name:           _Z31calcMonotonicQGradientsForElemsPKdS0_S0_S0_S0_S0_PKiS0_PdS3_S3_S3_S3_S3_S0_i
    .private_segment_fixed_size: 0
    .sgpr_count:     26
    .sgpr_spill_count: 0
    .symbol:         _Z31calcMonotonicQGradientsForElemsPKdS0_S0_S0_S0_S0_PKiS0_PdS3_S3_S3_S3_S3_S0_i.kd
    .uniform_work_group_size: 1
    .uses_dynamic_stack: false
    .vgpr_count:     94
    .vgpr_spill_count: 0
    .wavefront_size: 32
  - .args:
      - .actual_access:  read_only
        .address_space:  global
        .offset:         0
        .size:           8
        .value_kind:     global_buffer
      - .actual_access:  read_only
        .address_space:  global
        .offset:         8
        .size:           8
        .value_kind:     global_buffer
      - .actual_access:  write_only
        .address_space:  global
        .offset:         16
        .size:           8
        .value_kind:     global_buffer
      - .actual_access:  write_only
        .address_space:  global
        .offset:         24
        .size:           8
        .value_kind:     global_buffer
      - .actual_access:  read_only
        .address_space:  global
        .offset:         32
        .size:           8
        .value_kind:     global_buffer
      - .actual_access:  read_only
        .address_space:  global
        .offset:         40
        .size:           8
        .value_kind:     global_buffer
      - .actual_access:  read_only
        .address_space:  global
        .offset:         48
        .size:           8
        .value_kind:     global_buffer
      - .actual_access:  read_only
        .address_space:  global
        .offset:         56
        .size:           8
        .value_kind:     global_buffer
      - .actual_access:  read_only
        .address_space:  global
        .offset:         64
        .size:           8
        .value_kind:     global_buffer
      - .actual_access:  read_only
        .address_space:  global
        .offset:         72
        .size:           8
        .value_kind:     global_buffer
      - .actual_access:  read_only
        .address_space:  global
        .offset:         80
        .size:           8
        .value_kind:     global_buffer
      - .actual_access:  read_only
        .address_space:  global
        .offset:         88
        .size:           8
        .value_kind:     global_buffer
      - .actual_access:  read_only
        .address_space:  global
        .offset:         96
        .size:           8
        .value_kind:     global_buffer
      - .actual_access:  read_only
        .address_space:  global
        .offset:         104
        .size:           8
        .value_kind:     global_buffer
      - .actual_access:  read_only
        .address_space:  global
        .offset:         112
        .size:           8
        .value_kind:     global_buffer
      - .actual_access:  read_only
        .address_space:  global
        .offset:         120
        .size:           8
        .value_kind:     global_buffer
      - .actual_access:  read_only
        .address_space:  global
        .offset:         128
        .size:           8
        .value_kind:     global_buffer
      - .actual_access:  read_only
        .address_space:  global
        .offset:         136
        .size:           8
        .value_kind:     global_buffer
      - .actual_access:  read_only
        .address_space:  global
        .offset:         144
        .size:           8
        .value_kind:     global_buffer
      - .offset:         152
        .size:           8
        .value_kind:     by_value
      - .offset:         160
        .size:           8
        .value_kind:     by_value
      - .offset:         168
        .size:           8
        .value_kind:     by_value
      - .offset:         176
        .size:           8
        .value_kind:     by_value
      - .offset:         184
        .size:           4
        .value_kind:     by_value
      - .offset:         192
        .size:           4
        .value_kind:     hidden_block_count_x
      - .offset:         196
        .size:           4
        .value_kind:     hidden_block_count_y
      - .offset:         200
        .size:           4
        .value_kind:     hidden_block_count_z
      - .offset:         204
        .size:           2
        .value_kind:     hidden_group_size_x
      - .offset:         206
        .size:           2
        .value_kind:     hidden_group_size_y
      - .offset:         208
        .size:           2
        .value_kind:     hidden_group_size_z
      - .offset:         210
        .size:           2
        .value_kind:     hidden_remainder_x
      - .offset:         212
        .size:           2
        .value_kind:     hidden_remainder_y
      - .offset:         214
        .size:           2
        .value_kind:     hidden_remainder_z
      - .offset:         232
        .size:           8
        .value_kind:     hidden_global_offset_x
      - .offset:         240
        .size:           8
        .value_kind:     hidden_global_offset_y
      - .offset:         248
        .size:           8
        .value_kind:     hidden_global_offset_z
      - .offset:         256
        .size:           2
        .value_kind:     hidden_grid_dims
    .group_segment_fixed_size: 0
    .kernarg_segment_align: 8
    .kernarg_segment_size: 448
    .language:       OpenCL C
    .language_version:
      - 2
      - 0
    .max_flat_workgroup_size: 1024
    .name:           _Z22calcMonotonicQForElemsPKiPKdPdS3_S2_S2_S2_S2_S2_S2_S2_S2_S0_S0_S0_S0_S0_S0_S2_ddddi
    .private_segment_fixed_size: 0
    .sgpr_count:     46
    .sgpr_spill_count: 0
    .symbol:         _Z22calcMonotonicQForElemsPKiPKdPdS3_S2_S2_S2_S2_S2_S2_S2_S2_S0_S0_S0_S0_S0_S0_S2_ddddi.kd
    .uniform_work_group_size: 1
    .uses_dynamic_stack: false
    .vgpr_count:     60
    .vgpr_spill_count: 0
    .wavefront_size: 32
  - .args:
      - .actual_access:  read_only
        .address_space:  global
        .offset:         0
        .size:           8
        .value_kind:     global_buffer
      - .actual_access:  read_only
        .address_space:  global
        .offset:         8
        .size:           8
        .value_kind:     global_buffer
      - .actual_access:  read_only
        .address_space:  global
        .offset:         16
        .size:           8
        .value_kind:     global_buffer
      - .actual_access:  read_only
        .address_space:  global
        .offset:         24
        .size:           8
        .value_kind:     global_buffer
      - .actual_access:  read_only
        .address_space:  global
        .offset:         32
        .size:           8
        .value_kind:     global_buffer
      - .address_space:  global
        .offset:         40
        .size:           8
        .value_kind:     global_buffer
      - .address_space:  global
        .offset:         48
        .size:           8
        .value_kind:     global_buffer
      - .address_space:  global
        .offset:         56
        .size:           8
        .value_kind:     global_buffer
      - .actual_access:  write_only
        .address_space:  global
        .offset:         64
        .size:           8
        .value_kind:     global_buffer
      - .actual_access:  write_only
        .address_space:  global
        .offset:         72
        .size:           8
        .value_kind:     global_buffer
      - .address_space:  global
        .offset:         80
        .size:           8
        .value_kind:     global_buffer
      - .offset:         88
        .size:           8
        .value_kind:     by_value
      - .offset:         96
        .size:           8
        .value_kind:     by_value
      - .offset:         104
        .size:           8
        .value_kind:     by_value
      - .offset:         112
        .size:           8
        .value_kind:     by_value
      - .offset:         120
        .size:           8
        .value_kind:     by_value
      - .offset:         128
        .size:           8
        .value_kind:     by_value
      - .offset:         136
        .size:           8
        .value_kind:     by_value
      - .offset:         144
        .size:           8
        .value_kind:     by_value
      - .offset:         152
        .size:           8
        .value_kind:     by_value
      - .offset:         160
        .size:           8
        .value_kind:     by_value
      - .offset:         168
        .size:           4
        .value_kind:     by_value
      - .offset:         176
        .size:           4
        .value_kind:     hidden_block_count_x
      - .offset:         180
        .size:           4
        .value_kind:     hidden_block_count_y
      - .offset:         184
        .size:           4
        .value_kind:     hidden_block_count_z
      - .offset:         188
        .size:           2
        .value_kind:     hidden_group_size_x
      - .offset:         190
        .size:           2
        .value_kind:     hidden_group_size_y
      - .offset:         192
        .size:           2
        .value_kind:     hidden_group_size_z
      - .offset:         194
        .size:           2
        .value_kind:     hidden_remainder_x
      - .offset:         196
        .size:           2
        .value_kind:     hidden_remainder_y
      - .offset:         198
        .size:           2
        .value_kind:     hidden_remainder_z
      - .offset:         216
        .size:           8
        .value_kind:     hidden_global_offset_x
      - .offset:         224
        .size:           8
        .value_kind:     hidden_global_offset_y
      - .offset:         232
        .size:           8
        .value_kind:     hidden_global_offset_z
      - .offset:         240
        .size:           2
        .value_kind:     hidden_grid_dims
    .group_segment_fixed_size: 0
    .kernarg_segment_align: 8
    .kernarg_segment_size: 432
    .language:       OpenCL C
    .language_version:
      - 2
      - 0
    .max_flat_workgroup_size: 1024
    .name:           _Z31applyMaterialPropertiesForElemsPKdS0_S0_PKiS2_PdS3_S3_S3_S3_S3_ddddddddddi
    .private_segment_fixed_size: 0
    .sgpr_count:     27
    .sgpr_spill_count: 0
    .symbol:         _Z31applyMaterialPropertiesForElemsPKdS0_S0_PKiS2_PdS3_S3_S3_S3_S3_ddddddddddi.kd
    .uniform_work_group_size: 1
    .uses_dynamic_stack: false
    .vgpr_count:     42
    .vgpr_spill_count: 0
    .wavefront_size: 32
amdhsa.target:   amdgcn-amd-amdhsa--gfx1250
amdhsa.version:
  - 1
  - 2
...

	.end_amdgpu_metadata
